;; amdgpu-corpus repo=ROCm/aiter kind=harvested arch=n/a opt=n/a

/root/src/amdgpu-assembly/repos/ROCm__aiter/hsa/gfx942/fmha_v3_bwd/bwd_hd64_bf16_causal_br_a32_rtna_pssk_group.co:	file format elf64-amdgpu

Disassembly of section .text:

0000000000003e00 <_ZN5aiter48fmha_bwd_hd64_bf16_causal_br_a32_rtna_pssk_groupE>:
	s_and_b32 s1, s1, 0xffff                                   // 000000003E00: 8601FF01 0000FFFF
	s_load_dwordx2 s[32:33], s[0:1], 0x0                       // 000000003E08: C0060800 00000000
	s_load_dwordx2 s[36:37], s[0:1], 0x10                      // 000000003E10: C0060900 00000010
	s_load_dwordx2 s[40:41], s[0:1], 0x20                      // 000000003E18: C0060A00 00000020
	s_load_dwordx2 s[8:9], s[0:1], 0x30                        // 000000003E20: C0060200 00000030
	s_load_dwordx2 s[12:13], s[0:1], 0x40                      // 000000003E28: C0060300 00000040
	s_load_dwordx2 s[16:17], s[0:1], 0x50                      // 000000003E30: C0060400 00000050
	s_load_dwordx2 s[20:21], s[0:1], 0x60                      // 000000003E38: C0060500 00000060
	s_load_dwordx2 s[24:25], s[0:1], 0x70                      // 000000003E40: C0060600 00000070
	s_load_dwordx2 s[28:29], s[0:1], 0x80                      // 000000003E48: C0060700 00000080
	s_load_dword s47, s[0:1], 0x90                             // 000000003E50: C0020BC0 00000090
	s_load_dword s48, s[0:1], 0xa0                             // 000000003E58: C0020C00 000000A0
	s_load_dword s78, s[0:1], 0xd0                             // 000000003E60: C0021380 000000D0
	s_load_dword s5, s[0:1], 0xf0                              // 000000003E68: C0020140 000000F0
	s_load_dword s44, s[0:1], 0x100                            // 000000003E70: C0020B00 00000100
	s_load_dword s79, s[0:1], 0x110                            // 000000003E78: C00213C0 00000110
	s_load_dword s6, s[0:1], 0x130                             // 000000003E80: C0020180 00000130
	s_load_dword s52, s[0:1], 0x140                            // 000000003E88: C0020D00 00000140
	s_load_dword s80, s[0:1], 0x190                            // 000000003E90: C0021400 00000190
	s_load_dword s7, s[0:1], 0x1b0                             // 000000003E98: C00201C0 000001B0
	s_load_dword s81, s[0:1], 0x1c0                            // 000000003EA0: C0021440 000001C0
	s_load_dword s51, s[0:1], 0x1e0                            // 000000003EA8: C0020CC0 000001E0
	s_load_dword s82, s[0:1], 0x1f0                            // 000000003EB0: C0021480 000001F0
	s_load_dword s83, s[0:1], 0x210                            // 000000003EB8: C00214C0 00000210
	s_load_dword s53, s[0:1], 0x230                            // 000000003EC0: C0020D40 00000230
	s_load_dword s49, s[0:1], 0x240                            // 000000003EC8: C0020C40 00000240
	s_load_dwordx2 s[88:89], s[0:1], 0x250                     // 000000003ED0: C0061600 00000250
	s_load_dwordx2 s[92:93], s[0:1], 0x260                     // 000000003ED8: C0061700 00000260
	s_load_dwordx2 s[96:97], s[0:1], 0x270                     // 000000003EE0: C0061800 00000270
	s_load_dwordx2 s[100:101], s[0:1], 0x280                   // 000000003EE8: C0061900 00000280
	v_lshrrev_b32_e32 v1, 10, v0                               // 000000003EF0: 2002008A
	v_lshrrev_b32_e32 v2, 10, v1                               // 000000003EF4: 2004028A
	v_and_b32_e32 v2, 0x3ff, v2                                // 000000003EF8: 260404FF 000003FF
	v_and_b32_e32 v1, 0x3ff, v1                                // 000000003F00: 260202FF 000003FF
	v_and_b32_e32 v0, 0x3ff, v0                                // 000000003F08: 260000FF 000003FF
	v_lshrrev_b32_e32 v3, 6, v0                                // 000000003F10: 20060086
	v_and_b32_e32 v0, 63, v0                                   // 000000003F14: 260000BF
	s_mov_b32 s2, s2                                           // 000000003F18: BE820002
	s_mov_b32 s3, s3                                           // 000000003F1C: BE830003
	s_mov_b32 s4, s4                                           // 000000003F20: BE840004
	v_readfirstlane_b32 s46, v3                                // 000000003F24: 7E5C0503
	s_waitcnt lgkmcnt(0)                                       // 000000003F28: BF8CC07F
	s_mul_i32 s60, s4, 4                                       // 000000003F2C: 923C8404
	s_add_u32 s88, s60, s88                                    // 000000003F30: 8058583C
	s_addc_u32 s89, 0, s89                                     // 000000003F34: 82595980
	s_load_dwordx2 s[84:85], s[88:89], 0x0                     // 000000003F38: C006152C 00000000
	s_add_u32 s96, s60, s96                                    // 000000003F40: 8060603C
	s_addc_u32 s97, 0, s97                                     // 000000003F44: 82616180
	s_load_dword s90, s[96:97], 0x0                            // 000000003F48: C00216B0 00000000
	s_add_u32 s92, s60, s92                                    // 000000003F50: 805C5C3C
	s_addc_u32 s93, 0, s93                                     // 000000003F54: 825D5D80
	s_load_dwordx2 s[86:87], s[92:93], 0x0                     // 000000003F58: C00615AE 00000000
	s_add_u32 s100, s60, s100                                  // 000000003F60: 8064643C
	s_addc_u32 s101, 0, s101                                   // 000000003F64: 82656580
	s_load_dword s94, s[100:101], 0x0                          // 000000003F68: C00217B2 00000000
	s_mov_b32 s11, 0x20000                                     // 000000003F70: BE8B00FF 00020000
	s_mov_b32 s15, 0x20000                                     // 000000003F78: BE8F00FF 00020000
	s_mov_b32 s19, 0x20000                                     // 000000003F80: BE9300FF 00020000
	s_mov_b32 s23, 0x20000                                     // 000000003F88: BE9700FF 00020000
	s_mov_b32 s27, 0x20000                                     // 000000003F90: BE9B00FF 00020000
	s_mov_b32 s31, 0x20000                                     // 000000003F98: BE9F00FF 00020000
	s_mov_b32 s35, 0x20000                                     // 000000003FA0: BEA300FF 00020000
	s_mov_b32 s39, 0x20000                                     // 000000003FA8: BEA700FF 00020000
	s_mov_b32 s43, 0x20000                                     // 000000003FB0: BEAB00FF 00020000
	s_and_b32 s9, s9, 0xffff                                   // 000000003FB8: 8609FF09 0000FFFF
	s_and_b32 s13, s13, 0xffff                                 // 000000003FC0: 860DFF0D 0000FFFF
	s_and_b32 s17, s17, 0xffff                                 // 000000003FC8: 8611FF11 0000FFFF
	s_and_b32 s21, s21, 0xffff                                 // 000000003FD0: 8615FF15 0000FFFF
	s_and_b32 s25, s25, 0xffff                                 // 000000003FD8: 8619FF19 0000FFFF
	s_and_b32 s29, s29, 0xffff                                 // 000000003FE0: 861DFF1D 0000FFFF
	s_and_b32 s33, s33, 0xffff                                 // 000000003FE8: 8621FF21 0000FFFF
	s_and_b32 s37, s37, 0xffff                                 // 000000003FF0: 8625FF25 0000FFFF
	s_and_b32 s41, s41, 0xffff                                 // 000000003FF8: 8629FF29 0000FFFF
	s_or_b32 s9, s9, 0x40000                                   // 000000004000: 8709FF09 00040000
	s_or_b32 s13, s13, 0x40000                                 // 000000004008: 870DFF0D 00040000
	s_or_b32 s17, s17, 0x40000                                 // 000000004010: 8711FF11 00040000
	s_or_b32 s21, s21, 0x40000                                 // 000000004018: 8715FF15 00040000
	s_or_b32 s25, s25, 0x40000                                 // 000000004020: 8719FF19 00040000
	s_or_b32 s29, s29, 0x40000                                 // 000000004028: 871DFF1D 00040000
	s_or_b32 s33, s33, 0x40000                                 // 000000004030: 8721FF21 00040000
	s_or_b32 s37, s37, 0x40000                                 // 000000004038: 8725FF25 00040000
	s_or_b32 s41, s41, 0x40000                                 // 000000004040: 8729FF29 00040000
	v_accvgpr_write_b32 a159, 0                                // 000000004048: D3D9409F 18000080
	v_mov_b32_e32 v236, 0                                      // 000000004050: 7FD80280
	s_mov_b32 s71, s3                                          // 000000004054: BEC70003
	v_cvt_f32_u32_e32 v32, s44                                 // 000000004058: 7E400C2C
	s_sub_i32 s60, 0, s44                                      // 00000000405C: 81BC2C80
	v_rcp_iflag_f32_e32 v32, v32                               // 000000004060: 7E404720
	s_nop 0                                                    // 000000004064: BF800000
	v_mul_f32_e32 v32, 0x4f7ffffe, v32                         // 000000004068: 0A4040FF 4F7FFFFE
	v_cvt_u32_f32_e32 v32, v32                                 // 000000004070: 7E400F20
	v_mul_lo_u32 v33, s60, v32                                 // 000000004074: D2850021 0002403C
	v_mul_hi_u32 v33, v32, v33                                 // 00000000407C: D2860021 00024320
	v_add_u32_e32 v32, v32, v33                                // 000000004084: 68404320
	v_mul_hi_u32 v32, s71, v32                                 // 000000004088: D2860020 00024047
	v_mul_lo_u32 v33, v32, s44                                 // 000000004090: D2850021 00005920
	v_sub_u32_e32 v35, s71, v33                                // 000000004098: 6A464247
	v_add_u32_e32 v34, 1, v32                                  // 00000000409C: 68444081
	v_cmp_le_u32_e32 vcc, s44, v35                             // 0000000040A0: 7D96462C
	v_subrev_u32_e32 v33, s44, v35                             // 0000000040A4: 6C42462C
	s_nop 0                                                    // 0000000040A8: BF800000
	v_cndmask_b32_e32 v32, v32, v34, vcc                       // 0000000040AC: 00404520
	v_cndmask_b32_e32 v35, v35, v33, vcc                       // 0000000040B0: 00464323
	v_add_u32_e32 v33, 1, v32                                  // 0000000040B4: 68424081
	v_cmp_le_u32_e32 vcc, s44, v35                             // 0000000040B8: 7D96462C
	s_nop 1                                                    // 0000000040BC: BF800001
	v_cndmask_b32_e32 v35, v32, v33, vcc                       // 0000000040C0: 00464320
	s_nop 3                                                    // 0000000040C4: BF800003
	v_readfirstlane_b32 s45, v35                               // 0000000040C8: 7E5A0523
	s_nop 3                                                    // 0000000040CC: BF800003
	s_waitcnt lgkmcnt(0)                                       // 0000000040D0: BF8CC07F
	s_mul_i32 s61, s2, 0x180                                   // 0000000040D4: 923DFF02 00000180
	s_sub_i32 s87, s87, s86                                    // 0000000040DC: 81D75657
	s_mov_b32 s86, s94                                         // 0000000040E0: BED6005E
	s_sub_i32 s85, s85, s84                                    // 0000000040E4: 81D55455
	s_mov_b32 s84, s90                                         // 0000000040E8: BED4005A
	s_cmp_gt_i32 s85, 0                                        // 0000000040EC: BF028055
	s_cbranch_scc0 label_1F92                                  // 0000000040F0: BF841EB1
	s_mov_b32 s59, 0                                           // 0000000040F4: BEBB0080
	s_mov_b32 s58, s85                                         // 0000000040F8: BEBA0055
	s_cmp_ge_i32 s61, s87                                      // 0000000040FC: BF03573D
	s_cbranch_scc1 label_1F92                                  // 000000004100: BF851EAD
	s_mul_i32 s61, s45, s79                                    // 000000004104: 923D4F2D
	s_mov_b32 s54, s61                                         // 000000004108: BEB6003D
	s_add_u32 s12, s54, s12                                    // 00000000410C: 800C0C36
	s_addc_u32 s13, 0, s13                                     // 000000004110: 820D0D80
	s_mul_i32 s60, s86, s6                                     // 000000004114: 923C0656
	s_mul_hi_u32 s61, s86, s6                                  // 000000004118: 963D0656
	s_and_b32 s61, s61, 0xffff                                 // 00000000411C: 863DFF3D 0000FFFF
	s_add_u32 s12, s12, s60                                    // 000000004124: 800C3C0C
	s_addc_u32 s13, s13, s61                                   // 000000004128: 820D3D0D
	s_mul_i32 s61, s45, s80                                    // 00000000412C: 923D502D
	s_mov_b32 s54, s61                                         // 000000004130: BEB6003D
	s_add_u32 s16, s54, s16                                    // 000000004134: 80101036
	s_addc_u32 s17, 0, s17                                     // 000000004138: 82111180
	s_mul_i32 s60, s86, s7                                     // 00000000413C: 923C0756
	s_mul_hi_u32 s61, s86, s7                                  // 000000004140: 963D0756
	s_and_b32 s61, s61, 0xffff                                 // 000000004144: 863DFF3D 0000FFFF
	s_add_u32 s16, s16, s60                                    // 00000000414C: 80103C10
	s_addc_u32 s17, s17, s61                                   // 000000004150: 82113D11
	s_mul_i32 s61, s3, s78                                     // 000000004154: 923D4E03
	s_mov_b32 s55, s61                                         // 000000004158: BEB7003D
	s_add_u32 s8, s55, s8                                      // 00000000415C: 80080837
	s_addc_u32 s9, 0, s9                                       // 000000004160: 82090980
	s_mul_i32 s60, s84, s5                                     // 000000004164: 923C0554
	s_mul_hi_u32 s61, s84, s5                                  // 000000004168: 963D0554
	s_and_b32 s61, s61, 0xffff                                 // 00000000416C: 863DFF3D 0000FFFF
	s_add_u32 s8, s8, s60                                      // 000000004174: 80083C08
	s_addc_u32 s9, s9, s61                                     // 000000004178: 82093D09
	s_mul_i32 s61, s3, s81                                     // 00000000417C: 923D5103
	s_mov_b32 s56, s61                                         // 000000004180: BEB8003D
	s_add_u32 s20, s56, s20                                    // 000000004184: 80141438
	s_addc_u32 s21, 0, s21                                     // 000000004188: 82151580
	s_mul_i32 s60, s84, s51                                    // 00000000418C: 923C3354
	s_mul_hi_u32 s61, s84, s51                                 // 000000004190: 963D3354
	s_and_b32 s61, s61, 0xffff                                 // 000000004194: 863DFF3D 0000FFFF
	s_add_u32 s20, s20, s60                                    // 00000000419C: 80143C14
	s_addc_u32 s21, s21, s61                                   // 0000000041A0: 82153D15
	s_mul_i32 s62, 4, s84                                      // 0000000041A4: 923E5484
	s_mul_i32 s61, s3, s49                                     // 0000000041A8: 923D3103
	s_add_u32 s65, s61, s62                                    // 0000000041AC: 80413E3D
	s_mov_b32 s26, s85                                         // 0000000041B0: BE9A0055
	s_mov_b32 s30, s85                                         // 0000000041B4: BE9E0055
	s_add_u32 s24, s65, s24                                    // 0000000041B8: 80181841
	s_addc_u32 s25, 0, s25                                     // 0000000041BC: 82191980
	s_add_u32 s28, s65, s28                                    // 0000000041C0: 801C1C41
	s_addc_u32 s29, 0, s29                                     // 0000000041C4: 821D1D80
	s_mul_i32 s61, s3, s82                                     // 0000000041C8: 923D5203
	s_mul_i32 s62, s86, s52                                    // 0000000041CC: 923E3456
	s_add_u32 s60, s61, s62                                    // 0000000041D0: 803C3E3D
	s_mul_hi_u32 s61, s86, s52                                 // 0000000041D4: 963D3456
	s_and_b32 s61, s61, 0xffff                                 // 0000000041D8: 863DFF3D 0000FFFF
	s_add_u32 s36, s60, s36                                    // 0000000041E0: 8024243C
	s_addc_u32 s37, s61, s37                                   // 0000000041E4: 8225253D
	s_mul_i32 s60, s87, s52                                    // 0000000041E8: 923C3457
	s_lshr_b32 s60, s60, 2                                     // 0000000041EC: 8F3C823C
	s_mov_b32 s38, s60                                         // 0000000041F0: BEA6003C
	s_mul_i32 s61, s3, s83                                     // 0000000041F4: 923D5303
	s_mul_i32 s62, s86, s53                                    // 0000000041F8: 923E3556
	s_add_u32 s60, s61, s62                                    // 0000000041FC: 803C3E3D
	s_mul_hi_u32 s61, s86, s53                                 // 000000004200: 963D3556
	s_and_b32 s61, s61, 0xffff                                 // 000000004204: 863DFF3D 0000FFFF
	s_add_u32 s40, s60, s40                                    // 00000000420C: 8028283C
	s_addc_u32 s41, s61, s41                                   // 000000004210: 8229293D
	s_mul_i32 s60, s87, s53                                    // 000000004214: 923C3557
	s_lshr_b32 s60, s60, 2                                     // 000000004218: 8F3C823C
	s_mov_b32 s42, s60                                         // 00000000421C: BEAA003C
	s_mul_i32 s60, 64, s65                                     // 000000004220: 923C41C0
	s_mul_hi_u32 s61, 64, s65                                  // 000000004224: 963D41C0
	s_and_b32 s61, s61, 0xffff                                 // 000000004228: 863DFF3D 0000FFFF
	s_add_u32 s32, s60, s32                                    // 000000004230: 8020203C
	s_addc_u32 s33, s61, s33                                   // 000000004234: 8221213D
	s_mul_i32 s60, 64, s85                                     // 000000004238: 923C55C0
	s_mov_b32 s34, s60                                         // 00000000423C: BEA2003C
	s_mov_b32 s90, s8                                          // 000000004240: BEDA0008
	s_mov_b32 s94, s12                                         // 000000004244: BEDE000C
	s_mov_b32 s96, s16                                         // 000000004248: BEE00010
	s_mov_b32 s98, s20                                         // 00000000424C: BEE20014
	s_mov_b32 s91, s9                                          // 000000004250: BEDB0009
	s_mov_b32 s95, s13                                         // 000000004254: BEDF000D
	s_mov_b32 s97, s17                                         // 000000004258: BEE10011
	s_mov_b32 s99, s21                                         // 00000000425C: BEE30015
	s_add_u32 s71, 0xbf, s87                                   // 000000004260: 804757FF 000000BF
	s_mov_b32 s74, 0xc0                                        // 000000004268: BECA00FF 000000C0
	v_cvt_f32_u32_e32 v32, s74                                 // 000000004270: 7E400C4A
	s_sub_i32 s60, 0, s74                                      // 000000004274: 81BC4A80
	v_rcp_iflag_f32_e32 v32, v32                               // 000000004278: 7E404720
	s_nop 0                                                    // 00000000427C: BF800000
	v_mul_f32_e32 v32, 0x4f7ffffe, v32                         // 000000004280: 0A4040FF 4F7FFFFE
	v_cvt_u32_f32_e32 v32, v32                                 // 000000004288: 7E400F20
	v_mul_lo_u32 v33, s60, v32                                 // 00000000428C: D2850021 0002403C
	v_mul_hi_u32 v33, v32, v33                                 // 000000004294: D2860021 00024320
	v_add_u32_e32 v32, v32, v33                                // 00000000429C: 68404320
	v_mul_hi_u32 v32, s71, v32                                 // 0000000042A0: D2860020 00024047
	v_mul_lo_u32 v33, v32, s74                                 // 0000000042A8: D2850021 00009520
	v_sub_u32_e32 v35, s71, v33                                // 0000000042B0: 6A464247
	v_add_u32_e32 v34, 1, v32                                  // 0000000042B4: 68444081
	v_cmp_le_u32_e32 vcc, s74, v35                             // 0000000042B8: 7D96464A
	v_subrev_u32_e32 v33, s74, v35                             // 0000000042BC: 6C42464A
	s_nop 0                                                    // 0000000042C0: BF800000
	v_cndmask_b32_e32 v32, v32, v34, vcc                       // 0000000042C4: 00404520
	v_cndmask_b32_e32 v35, v35, v33, vcc                       // 0000000042C8: 00464323
	v_add_u32_e32 v33, 1, v32                                  // 0000000042CC: 68424081
	v_cmp_le_u32_e32 vcc, s74, v35                             // 0000000042D0: 7D96464A
	s_nop 1                                                    // 0000000042D4: BF800001
	v_cndmask_b32_e32 v35, v32, v33, vcc                       // 0000000042D8: 00464320
	s_nop 3                                                    // 0000000042DC: BF800003
	v_readfirstlane_b32 s77, v35                               // 0000000042E0: 7E9A0523
	s_nop 3                                                    // 0000000042E4: BF800003
	v_mov_b32_e32 v32, s47                                     // 0000000042E8: 7E40022F
	v_mul_f32_e32 v32, s48, v32                                // 0000000042EC: 0A404030
	v_mov_b32_e32 v229, 0xffff0000                             // 0000000042F0: 7FCA02FF FFFF0000
	v_mov_b32_e32 v230, 0x7fff0000                             // 0000000042F8: 7FCC02FF 7FFF0000
	v_mov_b32_e32 v231, 0x7fff                                 // 000000004300: 7FCE02FF 00007FFF
	s_mov_b32 s63, 0x5040100                                   // 000000004308: BEBF00FF 05040100
	s_mov_b32 s64, 0x7060302                                   // 000000004310: BEC000FF 07060302
	v_readfirstlane_b32 s57, v32                               // 000000004318: 7E720520
	v_mov_b32_e32 v34, 0x3020706                               // 00000000431C: 7E4402FF 03020706
	v_mov_b32_e32 v32, s63                                     // 000000004324: 7E40023F
	v_and_b32_e32 v33, 1, v0                                   // 000000004328: 26420081
	v_cmp_eq_u32_e32 vcc, 1, v33                               // 00000000432C: 7D944281
	s_mov_b32 s67, 0x800                                       // 000000004330: BEC300FF 00000800
	v_cndmask_b32_e32 v17, v32, v34, vcc                       // 000000004338: 00224520
	s_cmp_lt_u32 s46, 2                                        // 00000000433C: BF0A822E
	s_cselect_b32 s24, s24, s28                                // 000000004340: 85181C18
	s_cselect_b32 s25, s25, s29                                // 000000004344: 85191D19
	s_cselect_b32 s26, s26, s30                                // 000000004348: 851A1E1A
	s_cselect_b32 s27, s27, s31                                // 00000000434C: 851B1F1B
	s_lshr_b32 s60, s46, 1                                     // 000000004350: 8F3C812E
	s_lshl_b32 s60, s60, 8                                     // 000000004354: 8E3C883C
	s_add_u32 s80, 0x9a00, s60                                 // 000000004358: 80503CFF 00009A00
	s_add_u32 s81, 0x200, s80                                  // 000000004360: 805150FF 00000200
	s_mov_b32 m0, s80                                          // 000000004368: BEFC0050
	s_mov_b32 s75, 0                                           // 00000000436C: BECB0080
	s_mov_b32 s76, 1                                           // 000000004370: BECC0081
	s_lshl_b32 s60, s2, 1                                      // 000000004374: 8E3C8102
	s_add_u32 s60, 1, s60                                      // 000000004378: 803C3C81
	s_cmp_ge_i32 s60, s77                                      // 00000000437C: BF034D3C
	s_cselect_b32 s76, s76, 2                                  // 000000004380: 854C824C

0000000000004384 <label_0161>:
	s_mov_b32 m0, s80                                          // 000000004384: BEFC0050
	s_mov_b32 s66, 0                                           // 000000004388: BEC20080
	v_mov_b32_e32 v178, 0xff800000                             // 00000000438C: 7F6402FF FF800000
	s_mov_b32 s74, 0                                           // 000000004394: BECA0080
	s_mul_i32 s68, 8, s5                                       // 000000004398: 92440588
	s_mul_i32 s100, 8, s51                                     // 00000000439C: 92643388
	s_mov_b32 s69, 32                                          // 0000000043A0: BEC500A0
	s_mul_i32 s83, 0xc0, s2                                    // 0000000043A4: 925302FF 000000C0
	s_sub_i32 s60, s87, s85                                    // 0000000043AC: 81BC5557
	s_sub_i32 s71, s83, s60                                    // 0000000043B0: 81C73C53
	s_cmp_ge_i32 s71, 0                                        // 0000000043B4: BF038047
	s_cselect_b32 s59, s71, 0                                  // 0000000043B8: 853B8047
	s_add_i32 s60, s71, 0xc0                                   // 0000000043BC: 813CFF47 000000C0
	s_cmp_le_i32 s60, 0                                        // 0000000043C4: BF05803C
	s_cbranch_scc0 label_0175                                  // 0000000043C8: BF840002
	s_mov_b32 s82, 0                                           // 0000000043CC: BED20080
	s_branch label_0181                                        // 0000000043D0: BF82000C

00000000000043d4 <label_0175>:
	s_mov_b32 s82, 1                                           // 0000000043D4: BED20081
	s_sub_i32 s60, s59, s71                                    // 0000000043D8: 81BC473B
	v_lshrrev_b32_e32 v32, 4, v0                               // 0000000043DC: 20400084
	v_mul_i32_i24_e32 v32, 4, v32                              // 0000000043E0: 0C404084
	v_add_i32 v32, v32, s60                                    // 0000000043E4: D29C0020 00007920
	v_and_b32_e32 v33, 15, v0                                  // 0000000043EC: 2642008F
	v_mul_i32_i24_e64 v34, s46, 16                             // 0000000043F0: D1060022 0001202E
	v_add_u32_e32 v33, v33, v34                                // 0000000043F8: 68424521
	v_sub_i32 v236, v33, v32                                   // 0000000043FC: D29D00EC 00024121

0000000000004404 <label_0181>:
	s_mul_i32 s54, s6, s83                                     // 000000004404: 92365306
	s_sub_i32 s61, s87, s83                                    // 000000004408: 81BD5357
	s_mul_i32 s62, s6, s61                                     // 00000000440C: 923E3D06
	s_lshr_b32 s62, s62, 2                                     // 000000004410: 8F3E823E
	s_mov_b32 s14, s62                                         // 000000004414: BE8E003E
	s_add_u32 s12, s54, s94                                    // 000000004418: 800C5E36
	s_addc_u32 s13, 0, s95                                     // 00000000441C: 820D5F80
	s_mul_i32 s54, s7, s83                                     // 000000004420: 92365307
	s_mul_i32 s62, s7, s61                                     // 000000004424: 923E3D07
	s_lshr_b32 s62, s62, 2                                     // 000000004428: 8F3E823E
	s_mov_b32 s18, s62                                         // 00000000442C: BE92003E
	s_add_u32 s16, s54, s96                                    // 000000004430: 80106036
	s_addc_u32 s17, 0, s97                                     // 000000004434: 82116180
	s_mov_b32 s71, s6                                          // 000000004438: BEC70006
	v_lshrrev_b32_e32 v32, 4, v0                               // 00000000443C: 20400084
	v_and_b32_e32 v33, 1, v32                                  // 000000004440: 26424081
	v_lshlrev_b32_e32 v33, 1, v33                              // 000000004444: 24424281
	v_mul_i32_i24_e32 v33, s71, v33                            // 000000004448: 0C424247
	v_and_b32_e32 v34, 2, v32                                  // 00000000444C: 26444082
	v_lshlrev_b32_e32 v34, 5, v34                              // 000000004450: 24444485
	v_add_u32_e32 v33, v34, v33                                // 000000004454: 68424322
	v_and_b32_e32 v32, 15, v0                                  // 000000004458: 2640008F
	v_lshlrev_b32_e32 v32, 2, v32                              // 00000000445C: 24404082
	v_add_u32_e32 v1, v32, v33                                 // 000000004460: 68024320
	s_mul_i32 s60, s46, s71                                    // 000000004464: 923C472E
	s_mul_i32 s60, s60, 4                                      // 000000004468: 923C843C
	v_add_u32_e32 v1, s60, v1                                  // 00000000446C: 6802023C
	v_add_u32_e32 v2, s71, v1                                  // 000000004470: 68040247
	s_mul_i32 s60, 16, s71                                     // 000000004474: 923C4790
	v_add_u32_e32 v3, s60, v1                                  // 000000004478: 6806023C
	v_add_u32_e32 v4, s60, v2                                  // 00000000447C: 6808043C
	s_mov_b32 s71, s7                                          // 000000004480: BEC70007
	v_lshrrev_b32_e32 v32, 4, v0                               // 000000004484: 20400084
	v_and_b32_e32 v33, 1, v32                                  // 000000004488: 26424081
	v_lshlrev_b32_e32 v33, 1, v33                              // 00000000448C: 24424281
	v_mul_i32_i24_e32 v33, s71, v33                            // 000000004490: 0C424247
	v_and_b32_e32 v34, 2, v32                                  // 000000004494: 26444082
	v_lshlrev_b32_e32 v34, 5, v34                              // 000000004498: 24444485
	v_add_u32_e32 v33, v34, v33                                // 00000000449C: 68424322
	v_and_b32_e32 v32, 15, v0                                  // 0000000044A0: 2640008F
	v_lshlrev_b32_e32 v32, 2, v32                              // 0000000044A4: 24404082
	v_add_u32_e32 v232, v32, v33                               // 0000000044A8: 69D04320
	s_mul_i32 s60, s46, s71                                    // 0000000044AC: 923C472E
	s_mul_i32 s60, s60, 4                                      // 0000000044B0: 923C843C
	v_add_u32_e32 v232, s60, v232                              // 0000000044B4: 69D1D03C
	v_add_u32_e32 v233, s71, v232                              // 0000000044B8: 69D3D047
	s_mul_i32 s60, 16, s71                                     // 0000000044BC: 923C4790
	v_add_u32_e32 v234, s60, v232                              // 0000000044C0: 69D5D03C
	v_add_u32_e32 v235, s60, v233                              // 0000000044C4: 69D7D23C
	v_lshrrev_b32_e32 v1, 2, v1                                // 0000000044C8: 20020282
	v_lshrrev_b32_e32 v2, 2, v2                                // 0000000044CC: 20040482
	v_lshrrev_b32_e32 v232, 2, v232                            // 0000000044D0: 21D1D082
	v_lshrrev_b32_e32 v233, 2, v233                            // 0000000044D4: 21D3D282
	s_mov_b32 s70, s52                                         // 0000000044D8: BEC60034
	v_lshrrev_b32_e32 v32, 3, v0                               // 0000000044DC: 20400083
	v_mul_i32_i24_e32 v5, s70, v32                             // 0000000044E0: 0C0A4046
	v_lshrrev_b32_e32 v5, 2, v5                                // 0000000044E4: 200A0A82
	v_and_b32_e32 v32, 7, v0                                   // 0000000044E8: 26400087
	v_lshlrev_b32_e32 v33, 2, v32                              // 0000000044EC: 24424082
	v_add_u32_e32 v5, v33, v5                                  // 0000000044F0: 680A0B21
	s_mul_i32 s60, 16, s70                                     // 0000000044F4: 923C4690
	s_mul_i32 s60, s46, s60                                    // 0000000044F8: 923C3C2E
	v_lshlrev_b32_e32 v5, 2, v5                                // 0000000044FC: 240A0A82
	v_add_u32_e32 v5, s60, v5                                  // 000000004500: 680A0A3C
	s_mul_i32 s60, s52, s83                                    // 000000004504: 923C5334
	v_add_u32_e32 v5, s60, v5                                  // 000000004508: 680A0A3C
	v_lshrrev_b32_e32 v5, 2, v5                                // 00000000450C: 200A0A82
	s_mov_b32 s70, s53                                         // 000000004510: BEC60035
	v_lshrrev_b32_e32 v32, 3, v0                               // 000000004514: 20400083
	v_mul_i32_i24_e32 v10, s70, v32                            // 000000004518: 0C144046
	v_lshrrev_b32_e32 v10, 2, v10                              // 00000000451C: 20141482
	v_and_b32_e32 v32, 7, v0                                   // 000000004520: 26400087
	v_lshlrev_b32_e32 v33, 2, v32                              // 000000004524: 24424082
	v_add_u32_e32 v10, v33, v10                                // 000000004528: 68141521
	s_mul_i32 s60, 16, s70                                     // 00000000452C: 923C4690
	s_mul_i32 s60, s46, s60                                    // 000000004530: 923C3C2E
	v_lshlrev_b32_e32 v10, 2, v10                              // 000000004534: 24141482
	v_add_u32_e32 v10, s60, v10                                // 000000004538: 6814143C
	s_mul_i32 s60, s53, s83                                    // 00000000453C: 923C5335
	v_add_u32_e32 v10, s60, v10                                // 000000004540: 6814143C
	v_lshrrev_b32_e32 v10, 2, v10                              // 000000004544: 20141482
	s_cmp_ge_i32 s59, s85                                      // 000000004548: BF03553B
	s_cselect_b32 s59, s85, s59                                // 00000000454C: 853B3B55
	s_add_u32 s73, 32, s59                                     // 000000004550: 80493BA0
	s_mul_i32 s55, s5, s59                                     // 000000004554: 92373B05
	s_sub_i32 s61, s85, s59                                    // 000000004558: 81BD3B55
	s_mul_i32 s62, s5, s61                                     // 00000000455C: 923E3D05
	s_lshr_b32 s62, s62, 2                                     // 000000004560: 8F3E823E
	s_mov_b32 s10, s62                                         // 000000004564: BE8A003E
	s_add_u32 s8, s55, s90                                     // 000000004568: 80085A37
	s_addc_u32 s9, 0, s91                                      // 00000000456C: 82095B80
	s_mul_i32 s56, s51, s59                                    // 000000004570: 92383B33
	s_mul_i32 s62, s51, s61                                    // 000000004574: 923E3D33
	s_lshr_b32 s62, s62, 2                                     // 000000004578: 8F3E823E
	s_mov_b32 s22, s62                                         // 00000000457C: BE96003E
	s_add_u32 s20, s56, s98                                    // 000000004580: 80146238
	s_addc_u32 s21, 0, s99                                     // 000000004584: 82156380
	s_mul_i32 s65, s59, 4                                      // 000000004588: 9241843B
	v_and_b32_e32 v11, 31, v0                                  // 00000000458C: 2616009F
	v_lshlrev_b32_e32 v11, 2, v11                              // 000000004590: 24161682
	v_add_u32_e32 v11, s65, v11                                // 000000004594: 68161641
	v_lshrrev_b32_e32 v11, 2, v11                              // 000000004598: 20161682
	v_lshrrev_b32_e32 v32, 5, v0                               // 00000000459C: 20400085
	v_mul_i32_i24_e32 v6, 0x80, v32                            // 0000000045A0: 0C0C40FF 00000080
	v_and_b32_e32 v32, 31, v0                                  // 0000000045A8: 2640009F
	v_add_u32_e32 v6, v32, v6                                  // 0000000045AC: 680C0D20
	s_mul_i32 s60, s46, 0x100                                  // 0000000045B0: 923CFF2E 00000100
	v_add_u32_e32 v6, s60, v6                                  // 0000000045B8: 680C0C3C
	v_lshlrev_b32_e32 v6, 2, v6                                // 0000000045BC: 240C0C82
	v_add_u32_e32 v7, 0x100, v6                                // 0000000045C0: 680E0CFF 00000100
	v_add_u32_e32 v8, 0x1000, v6                               // 0000000045C8: 68100CFF 00001000
	v_add_u32_e32 v9, 0x1000, v7                               // 0000000045D0: 68120EFF 00001000
	s_mul_i32 s60, 64, s65                                     // 0000000045D8: 923C41C0
	v_add_u32_e32 v6, s60, v6                                  // 0000000045DC: 680C0C3C
	v_lshrrev_b32_e32 v6, 2, v6                                // 0000000045E0: 200C0C82
	v_add_u32_e32 v7, s60, v7                                  // 0000000045E4: 680E0E3C
	v_lshrrev_b32_e32 v7, 2, v7                                // 0000000045E8: 200E0E82
	v_add_u32_e32 v8, s60, v8                                  // 0000000045EC: 6810103C
	v_lshrrev_b32_e32 v8, 2, v8                                // 0000000045F0: 20101082
	v_add_u32_e32 v9, s60, v9                                  // 0000000045F4: 6812123C
	v_lshrrev_b32_e32 v9, 2, v9                                // 0000000045F8: 20121282
	s_mul_i32 s60, 3, s2                                       // 0000000045FC: 923C0283
	s_add_u32 s61, s87, 63                                     // 000000004600: 803DBF57
	s_lshr_b32 s61, s61, 6                                     // 000000004604: 8F3D863D
	s_sub_i32 s72, s61, s60                                    // 000000004608: 81C83C3D
	s_cmp_lt_i32 s72, 3                                        // 00000000460C: BF048348
	s_cselect_b32 s72, s72, 3                                  // 000000004610: 85488348
	s_mul_i32 s60, 0xc0, s2                                    // 000000004614: 923C02FF 000000C0
	s_sub_i32 s84, s87, s60                                    // 00000000461C: 81D43C57
	v_and_b32_e32 v32, 31, v0                                  // 000000004620: 2640009F
	v_lshrrev_b32_e32 v32, 1, v32                              // 000000004624: 20404081
	v_and_b32_e32 v33, 1, v32                                  // 000000004628: 26424081
	v_lshlrev_b32_e32 v33, 4, v33                              // 00000000462C: 24424284
	v_and_b32_e32 v34, 2, v32                                  // 000000004630: 26444082
	v_lshlrev_b32_e32 v34, 2, v34                              // 000000004634: 24444482
	v_add_u32_e32 v33, v34, v33                                // 000000004638: 68424322
	v_and_b32_e32 v34, 12, v32                                 // 00000000463C: 2644408C
	v_lshrrev_b32_e32 v34, 1, v34                              // 000000004640: 20444481
	v_add_u32_e32 v33, v34, v33                                // 000000004644: 68424322
	v_lshrrev_b32_e32 v32, 5, v0                               // 000000004648: 20400085
	v_mul_i32_i24_e32 v34, 0x80, v32                           // 00000000464C: 0C4440FF 00000080
	v_add_u32_e32 v33, v34, v33                                // 000000004654: 68424322
	v_and_b32_e32 v34, 1, v0                                   // 000000004658: 26440081
	v_add_u32_e32 v13, v34, v33                                // 00000000465C: 681A4322
	s_mul_i32 s60, s46, 32                                     // 000000004660: 923CA02E
	v_add_u32_e32 v13, s60, v13                                // 000000004664: 681A1A3C
	v_lshlrev_b32_e32 v13, 2, v13                              // 000000004668: 241A1A82
	v_lshrrev_b32_e32 v32, 4, v0                               // 00000000466C: 20400084
	v_and_b32_e32 v33, 1, v32                                  // 000000004670: 26424081
	v_lshlrev_b32_e32 v33, 4, v33                              // 000000004674: 24424284
	v_and_b32_e32 v34, 2, v32                                  // 000000004678: 26444082
	v_mul_i32_i24_e32 v34, 4, v34                              // 00000000467C: 0C444484
	v_add_u32_e32 v33, v34, v33                                // 000000004680: 68424322
	v_and_b32_e32 v32, 15, v0                                  // 000000004684: 2640008F
	v_lshrrev_b32_e32 v34, 2, v32                              // 000000004688: 20444082
	v_lshlrev_b32_e32 v34, 5, v34                              // 00000000468C: 24444485
	v_add_u32_e32 v33, v34, v33                                // 000000004690: 68424322
	v_and_b32_e32 v32, 3, v0                                   // 000000004694: 26400083
	v_and_b32_e32 v34, 1, v32                                  // 000000004698: 26444081
	v_mul_i32_i24_e32 v34, 0x108, v34                          // 00000000469C: 0C4444FF 00000108
	v_add_u32_e32 v33, v34, v33                                // 0000000046A4: 68424322
	v_and_b32_e32 v34, 2, v32                                  // 0000000046A8: 26444082
	v_lshlrev_b32_e32 v34, 1, v34                              // 0000000046AC: 24444481
	v_add_u32_e32 v12, v34, v33                                // 0000000046B0: 68184322
	v_lshlrev_b32_e32 v12, 2, v12                              // 0000000046B4: 24181882
	s_mul_i32 s60, s46, 0x880                                  // 0000000046B8: 923CFF2E 00000880
	v_add_u32_e32 v24, s60, v12                                // 0000000046C0: 6830183C
	v_lshrrev_b32_e32 v32, 5, v0                               // 0000000046C4: 20400085
	v_mul_i32_i24_e32 v15, 0x80, v32                           // 0000000046C8: 0C1E40FF 00000080
	v_and_b32_e32 v32, 31, v0                                  // 0000000046D0: 2640009F
	v_and_b32_e32 v33, 7, v32                                  // 0000000046D4: 26424087
	v_and_b32_e32 v34, 1, v33                                  // 0000000046D8: 26444281
	v_lshlrev_b32_e32 v34, 2, v34                              // 0000000046DC: 24444482
	v_add_u32_e32 v15, v34, v15                                // 0000000046E0: 681E1F22
	v_and_b32_e32 v34, 2, v33                                  // 0000000046E4: 26444282
	v_lshlrev_b32_e32 v34, 3, v34                              // 0000000046E8: 24444483
	v_add_u32_e32 v15, v34, v15                                // 0000000046EC: 681E1F22
	v_and_b32_e32 v34, 4, v33                                  // 0000000046F0: 26444284
	v_lshlrev_b32_e32 v34, 1, v34                              // 0000000046F4: 24444481
	v_add_u32_e32 v15, v34, v15                                // 0000000046F8: 681E1F22
	v_lshrrev_b32_e32 v33, 3, v32                              // 0000000046FC: 20424083
	v_and_b32_e32 v34, 1, v33                                  // 000000004700: 26444281
	v_lshlrev_b32_e32 v34, 1, v34                              // 000000004704: 24444481
	v_add_u32_e32 v15, v34, v15                                // 000000004708: 681E1F22
	v_and_b32_e32 v34, 2, v33                                  // 00000000470C: 26444282
	v_lshrrev_b32_e32 v34, 1, v34                              // 000000004710: 20444481
	v_add_u32_e32 v15, v34, v15                                // 000000004714: 681E1F22
	s_mul_i32 s60, s46, 32                                     // 000000004718: 923CA02E
	v_add_u32_e32 v15, s60, v15                                // 00000000471C: 681E1E3C
	v_lshlrev_b32_e32 v15, 2, v15                              // 000000004720: 241E1E82
	v_and_b32_e32 v32, 15, v0                                  // 000000004724: 2640008F
	v_and_b32_e32 v34, 1, v32                                  // 000000004728: 26444081
	v_mul_i32_i24_e32 v14, 0x108, v34                          // 00000000472C: 0C1C44FF 00000108
	v_and_b32_e32 v34, 2, v32                                  // 000000004734: 26444082
	v_lshlrev_b32_e32 v34, 1, v34                              // 000000004738: 24444481
	v_add_u32_e32 v14, v34, v14                                // 00000000473C: 681C1D22
	v_and_b32_e32 v34, 4, v32                                  // 000000004740: 26444084
	v_lshlrev_b32_e32 v34, 2, v34                              // 000000004744: 24444482
	v_add_u32_e32 v14, v34, v14                                // 000000004748: 681C1D22
	v_and_b32_e32 v34, 8, v32                                  // 00000000474C: 26444088
	v_add_u32_e32 v14, v34, v14                                // 000000004750: 681C1D22
	v_lshrrev_b32_e32 v32, 4, v0                               // 000000004754: 20400084
	v_and_b32_e32 v34, 1, v32                                  // 000000004758: 26444081
	v_lshlrev_b32_e32 v34, 5, v34                              // 00000000475C: 24444485
	v_add_u32_e32 v14, v34, v14                                // 000000004760: 681C1D22
	v_and_b32_e32 v33, 2, v32                                  // 000000004764: 26424082
	v_mul_i32_i24_e32 v34, 32, v33                             // 000000004768: 0C4442A0
	v_mul_i32_i24_e32 v33, 0x110, v33                          // 00000000476C: 0C4242FF 00000110
	v_add_u32_e32 v25, v33, v14                                // 000000004774: 68321D21
	v_add_u32_e32 v14, v34, v14                                // 000000004778: 681C1D22
	v_lshlrev_b32_e32 v14, 2, v14                              // 00000000477C: 241C1C82
	v_lshlrev_b32_e32 v25, 2, v25                              // 000000004780: 24323282
	s_and_b32 s60, 1, s46                                      // 000000004784: 863C2E81
	s_mul_i32 s60, s60, 0x200                                  // 000000004788: 923CFF3C 00000200
	v_add_u32_e32 v25, s60, v25                                // 000000004790: 6832323C
	v_lshrrev_b32_e32 v32, 4, v0                               // 000000004794: 20400084
	v_mul_i32_i24_e32 v23, 4, v32                              // 000000004798: 0C2E4084
	v_and_b32_e32 v33, 3, v0                                   // 00000000479C: 26420083
	v_add_u32_e32 v23, v33, v23                                // 0000000047A0: 682E2F21
	v_lshlrev_b32_e32 v23, 2, v23                              // 0000000047A4: 242E2E82
	v_lshrrev_b32_e32 v32, 4, v0                               // 0000000047A8: 20400084
	v_and_b32_e32 v33, 1, v32                                  // 0000000047AC: 26424081
	v_mul_i32_i24_e32 v21, 0x100, v33                          // 0000000047B0: 0C2A42FF 00000100
	v_and_b32_e32 v33, 2, v32                                  // 0000000047B8: 26424082
	v_mul_i32_i24_e32 v33, 64, v33                             // 0000000047BC: 0C4242C0
	v_add_u32_e32 v21, v33, v21                                // 0000000047C0: 682A2B21
	v_and_b32_e32 v32, 15, v0                                  // 0000000047C4: 2640008F
	v_mul_i32_i24_e32 v33, 2, v32                              // 0000000047C8: 0C424082
	v_add_u32_e32 v21, v33, v21                                // 0000000047CC: 682A2B21
	s_mul_i32 s60, s46, 32                                     // 0000000047D0: 923CA02E
	v_add_u32_e32 v21, s60, v21                                // 0000000047D4: 682A2A3C
	v_lshlrev_b32_e32 v21, 2, v21                              // 0000000047D8: 242A2A82
	v_lshlrev_b32_e32 v22, 1, v0                               // 0000000047DC: 242C0081
	s_mul_i32 s60, s46, 0x200                                  // 0000000047E0: 923CFF2E 00000200
	v_add_u32_e32 v22, s60, v22                                // 0000000047E8: 682C2C3C
	v_lshlrev_b32_e32 v22, 2, v22                              // 0000000047EC: 242C2C82
	v_lshrrev_b32_e32 v32, 5, v0                               // 0000000047F0: 20400085
	v_mul_i32_i24_e32 v19, 64, v32                             // 0000000047F4: 0C2640C0
	v_and_b32_e32 v32, 31, v0                                  // 0000000047F8: 2640009F
	v_and_b32_e32 v32, 3, v32                                  // 0000000047FC: 26404083
	v_and_b32_e32 v33, 1, v32                                  // 000000004800: 26424081
	v_mul_i32_i24_e32 v33, 4, v33                              // 000000004804: 0C424284
	v_add_u32_e32 v19, v33, v19                                // 000000004808: 68262721
	v_and_b32_e32 v33, 2, v32                                  // 00000000480C: 26424082
	v_mul_i32_i24_e32 v33, 0x44, v33                           // 000000004810: 0C4242FF 00000044
	v_add_u32_e32 v19, v33, v19                                // 000000004818: 68262721
	v_and_b32_e32 v32, 31, v0                                  // 00000000481C: 2640009F
	v_lshrrev_b32_e32 v32, 2, v32                              // 000000004820: 20404082
	v_lshrrev_b32_e32 v34, 2, v32                              // 000000004824: 20444082
	v_mul_i32_i24_e32 v33, 16, v34                             // 000000004828: 0C424490
	v_add_u32_e32 v19, v33, v19                                // 00000000482C: 68262721
	v_and_b32_e32 v33, 2, v32                                  // 000000004830: 26424082
	v_lshlrev_b32_e32 v33, 4, v33                              // 000000004834: 24424284
	v_add_u32_e32 v19, v33, v19                                // 000000004838: 68262721
	v_and_b32_e32 v33, 1, v32                                  // 00000000483C: 26424081
	v_xor_b32_e32 v33, v34, v33                                // 000000004840: 2A424322
	v_mul_i32_i24_e32 v33, 8, v33                              // 000000004844: 0C424288
	v_add_u32_e32 v19, v33, v19                                // 000000004848: 68262721
	s_lshr_b32 s60, s46, 1                                     // 00000000484C: 8F3C812E
	s_mul_i32 s60, s60, 0x6c0                                  // 000000004850: 923CFF3C 000006C0
	v_add_u32_e32 v19, s60, v19                                // 000000004858: 6826263C
	v_lshlrev_b32_e32 v19, 2, v19                              // 00000000485C: 24262682
	v_lshrrev_b32_e32 v32, 5, v0                               // 000000004860: 20400085
	v_mul_i32_i24_e32 v20, 32, v32                             // 000000004864: 0C2840A0
	v_and_b32_e32 v32, 31, v0                                  // 000000004868: 2640009F
	v_and_b32_e32 v32, 3, v32                                  // 00000000486C: 26404083
	v_and_b32_e32 v33, 1, v32                                  // 000000004870: 26424081
	v_mul_i32_i24_e32 v33, 4, v33                              // 000000004874: 0C424284
	v_add_u32_e32 v20, v33, v20                                // 000000004878: 68282921
	v_and_b32_e32 v33, 2, v32                                  // 00000000487C: 26424082
	v_lshrrev_b32_e32 v33, 1, v33                              // 000000004880: 20424281
	v_add_u32_e32 v20, v33, v20                                // 000000004884: 68282921
	v_and_b32_e32 v32, 31, v0                                  // 000000004888: 2640009F
	v_lshrrev_b32_e32 v32, 2, v32                              // 00000000488C: 20404082
	v_and_b32_e32 v34, 1, v32                                  // 000000004890: 26444081
	v_mul_i32_i24_e32 v33, 16, v34                             // 000000004894: 0C424490
	v_add_u32_e32 v20, v33, v20                                // 000000004898: 68282921
	v_and_b32_e32 v33, 2, v32                                  // 00000000489C: 26424082
	v_add_u32_e32 v20, v33, v20                                // 0000000048A0: 68282921
	v_lshrrev_b32_e32 v33, 2, v32                              // 0000000048A4: 20424082
	v_xor_b32_e32 v33, v34, v33                                // 0000000048A8: 2A424322
	v_mul_i32_i24_e32 v33, 8, v33                              // 0000000048AC: 0C424288
	v_add_u32_e32 v20, v33, v20                                // 0000000048B0: 68282921
	s_and_b32 s60, 1, s46                                      // 0000000048B4: 863C2E81
	s_mul_i32 s60, s60, 64                                     // 0000000048B8: 923CC03C
	s_lshr_b32 s61, s46, 1                                     // 0000000048BC: 8F3D812E
	s_mul_i32 s61, s61, 0x120                                  // 0000000048C0: 923DFF3D 00000120
	s_add_u32 s60, s60, s61                                    // 0000000048C8: 803C3D3C
	v_add_u32_e32 v20, s60, v20                                // 0000000048CC: 6828283C
	v_lshlrev_b32_e32 v20, 2, v20                              // 0000000048D0: 24282882
	buffer_load_dword v180, v1, s[12:15], 0 idxen              // 0000000048D4: E0502000 8003B401
	buffer_load_dword v181, v2, s[12:15], 0 idxen              // 0000000048DC: E0502000 8003B502
	s_mul_i32 s60, 4, s6                                       // 0000000048E4: 923C0684
	s_cmp_lt_i32 0, s72                                        // 0000000048E8: BF044880
	s_cselect_b32 s60, s60, 0                                  // 0000000048EC: 853C803C
	v_add_u32_e32 v1, s60, v1                                  // 0000000048F0: 6802023C
	v_add_u32_e32 v2, s60, v2                                  // 0000000048F4: 6804043C
	buffer_load_dword v182, v1, s[12:15], 0 idxen              // 0000000048F8: E0502000 8003B601
	buffer_load_dword v183, v2, s[12:15], 0 idxen              // 000000004900: E0502000 8003B702
	s_mul_i32 s60, 4, s6                                       // 000000004908: 923C0684
	s_cmp_lt_i32 0, s72                                        // 00000000490C: BF044880
	s_cselect_b32 s60, s60, 0                                  // 000000004910: 853C803C
	v_add_u32_e32 v1, s60, v1                                  // 000000004914: 6802023C
	v_add_u32_e32 v2, s60, v2                                  // 000000004918: 6804043C
	buffer_load_dword v184, v1, s[12:15], 0 idxen              // 00000000491C: E0502000 8003B801
	buffer_load_dword v185, v2, s[12:15], 0 idxen              // 000000004924: E0502000 8003B902
	s_mul_i32 s60, 4, s6                                       // 00000000492C: 923C0684
	s_cmp_lt_i32 0, s72                                        // 000000004930: BF044880
	s_cselect_b32 s60, s60, 0                                  // 000000004934: 853C803C
	v_add_u32_e32 v1, s60, v1                                  // 000000004938: 6802023C
	v_add_u32_e32 v2, s60, v2                                  // 00000000493C: 6804043C
	buffer_load_dword v186, v1, s[12:15], 0 idxen              // 000000004940: E0502000 8003BA01
	buffer_load_dword v187, v2, s[12:15], 0 idxen              // 000000004948: E0502000 8003BB02
	s_mul_i32 s60, 4, s6                                       // 000000004950: 923C0684
	s_cmp_lt_i32 1, s72                                        // 000000004954: BF044881
	s_cselect_b32 s60, s60, 0                                  // 000000004958: 853C803C
	v_add_u32_e32 v1, s60, v1                                  // 00000000495C: 6802023C
	v_add_u32_e32 v2, s60, v2                                  // 000000004960: 6804043C
	buffer_load_dword v188, v1, s[12:15], 0 idxen              // 000000004964: E0502000 8003BC01
	buffer_load_dword v189, v2, s[12:15], 0 idxen              // 00000000496C: E0502000 8003BD02
	s_mul_i32 s60, 4, s6                                       // 000000004974: 923C0684
	s_cmp_lt_i32 1, s72                                        // 000000004978: BF044881
	s_cselect_b32 s60, s60, 0                                  // 00000000497C: 853C803C
	v_add_u32_e32 v1, s60, v1                                  // 000000004980: 6802023C
	v_add_u32_e32 v2, s60, v2                                  // 000000004984: 6804043C
	buffer_load_dword v190, v1, s[12:15], 0 idxen              // 000000004988: E0502000 8003BE01
	buffer_load_dword v191, v2, s[12:15], 0 idxen              // 000000004990: E0502000 8003BF02
	s_mul_i32 s60, 4, s6                                       // 000000004998: 923C0684
	s_cmp_lt_i32 1, s72                                        // 00000000499C: BF044881
	s_cselect_b32 s60, s60, 0                                  // 0000000049A0: 853C803C
	v_add_u32_e32 v1, s60, v1                                  // 0000000049A4: 6802023C
	v_add_u32_e32 v2, s60, v2                                  // 0000000049A8: 6804043C
	buffer_load_dword v192, v1, s[12:15], 0 idxen              // 0000000049AC: E0502000 8003C001
	buffer_load_dword v193, v2, s[12:15], 0 idxen              // 0000000049B4: E0502000 8003C102
	s_mul_i32 s60, 4, s6                                       // 0000000049BC: 923C0684
	s_cmp_lt_i32 1, s72                                        // 0000000049C0: BF044881
	s_cselect_b32 s60, s60, 0                                  // 0000000049C4: 853C803C
	v_add_u32_e32 v1, s60, v1                                  // 0000000049C8: 6802023C
	v_add_u32_e32 v2, s60, v2                                  // 0000000049CC: 6804043C
	buffer_load_dword v194, v1, s[12:15], 0 idxen              // 0000000049D0: E0502000 8003C201
	buffer_load_dword v195, v2, s[12:15], 0 idxen              // 0000000049D8: E0502000 8003C302
	s_mul_i32 s60, 4, s6                                       // 0000000049E0: 923C0684
	s_cmp_lt_i32 2, s72                                        // 0000000049E4: BF044882
	s_cselect_b32 s60, s60, 0                                  // 0000000049E8: 853C803C
	v_add_u32_e32 v1, s60, v1                                  // 0000000049EC: 6802023C
	v_add_u32_e32 v2, s60, v2                                  // 0000000049F0: 6804043C
	buffer_load_dword v196, v1, s[12:15], 0 idxen              // 0000000049F4: E0502000 8003C401
	buffer_load_dword v197, v2, s[12:15], 0 idxen              // 0000000049FC: E0502000 8003C502
	s_mul_i32 s60, 4, s6                                       // 000000004A04: 923C0684
	s_cmp_lt_i32 2, s72                                        // 000000004A08: BF044882
	s_cselect_b32 s60, s60, 0                                  // 000000004A0C: 853C803C
	v_add_u32_e32 v1, s60, v1                                  // 000000004A10: 6802023C
	v_add_u32_e32 v2, s60, v2                                  // 000000004A14: 6804043C
	buffer_load_dword v198, v1, s[12:15], 0 idxen              // 000000004A18: E0502000 8003C601
	buffer_load_dword v199, v2, s[12:15], 0 idxen              // 000000004A20: E0502000 8003C702
	s_mul_i32 s60, 4, s6                                       // 000000004A28: 923C0684
	s_cmp_lt_i32 2, s72                                        // 000000004A2C: BF044882
	s_cselect_b32 s60, s60, 0                                  // 000000004A30: 853C803C
	v_add_u32_e32 v1, s60, v1                                  // 000000004A34: 6802023C
	v_add_u32_e32 v2, s60, v2                                  // 000000004A38: 6804043C
	buffer_load_dword v200, v1, s[12:15], 0 idxen              // 000000004A3C: E0502000 8003C801
	buffer_load_dword v201, v2, s[12:15], 0 idxen              // 000000004A44: E0502000 8003C902
	s_mul_i32 s60, 4, s6                                       // 000000004A4C: 923C0684
	s_cmp_lt_i32 2, s72                                        // 000000004A50: BF044882
	s_cselect_b32 s60, s60, 0                                  // 000000004A54: 853C803C
	v_add_u32_e32 v1, s60, v1                                  // 000000004A58: 6802023C
	v_add_u32_e32 v2, s60, v2                                  // 000000004A5C: 6804043C
	buffer_load_dword v202, v1, s[12:15], 0 idxen              // 000000004A60: E0502000 8003CA01
	buffer_load_dword v203, v2, s[12:15], 0 idxen              // 000000004A68: E0502000 8003CB02
	s_mul_i32 s60, 4, s6                                       // 000000004A70: 923C0684
	s_cmp_lt_i32 3, s72                                        // 000000004A74: BF044883
	s_cselect_b32 s60, s60, 0                                  // 000000004A78: 853C803C
	v_add_u32_e32 v1, s60, v1                                  // 000000004A7C: 6802023C
	v_add_u32_e32 v2, s60, v2                                  // 000000004A80: 6804043C
	s_waitcnt vmcnt(16) lgkmcnt(0)                             // 000000004A84: BF8C4070
	s_barrier                                                  // 000000004A88: BF8A0000
	s_cmp_lt_i32 0, s72                                        // 000000004A8C: BF044880
	s_cbranch_scc1 label_032D                                  // 000000004A90: BF850008
	v_mov_b32_e32 v180, 0                                      // 000000004A94: 7F680280
	v_mov_b32_e32 v181, 0                                      // 000000004A98: 7F6A0280
	v_mov_b32_e32 v182, 0                                      // 000000004A9C: 7F6C0280
	v_mov_b32_e32 v183, 0                                      // 000000004AA0: 7F6E0280
	v_mov_b32_e32 v184, 0                                      // 000000004AA4: 7F700280
	v_mov_b32_e32 v185, 0                                      // 000000004AA8: 7F720280
	v_mov_b32_e32 v186, 0                                      // 000000004AAC: 7F740280
	v_mov_b32_e32 v187, 0                                      // 000000004AB0: 7F760280

0000000000004ab4 <label_032D>:
	v_perm_b32 v204, v181, v180, s63                           // 000000004AB4: D1ED00CC 00FF69B5
	v_perm_b32 v205, v181, v180, s64                           // 000000004ABC: D1ED00CD 010369B5
	v_perm_b32 v206, v183, v182, s63                           // 000000004AC4: D1ED00CE 00FF6DB7
	v_perm_b32 v207, v183, v182, s64                           // 000000004ACC: D1ED00CF 01036DB7
	v_perm_b32 v208, v185, v184, s63                           // 000000004AD4: D1ED00D0 00FF71B9
	v_perm_b32 v209, v185, v184, s64                           // 000000004ADC: D1ED00D1 010371B9
	v_perm_b32 v210, v187, v186, s63                           // 000000004AE4: D1ED00D2 00FF75BB
	v_perm_b32 v211, v187, v186, s64                           // 000000004AEC: D1ED00D3 010375BB
	ds_write_b32 v15, v204 offset:8704                         // 000000004AF4: D81A2200 0000CC0F
	ds_write_b32 v15, v205 offset:9760                         // 000000004AFC: D81A2620 0000CD0F
	ds_write_b32 v15, v206 offset:10880                        // 000000004B04: D81A2A80 0000CE0F
	ds_write_b32 v15, v207 offset:11936                        // 000000004B0C: D81A2EA0 0000CF0F
	ds_write_b32 v15, v208 offset:13056                        // 000000004B14: D81A3300 0000D00F
	ds_write_b32 v15, v209 offset:14112                        // 000000004B1C: D81A3720 0000D10F
	ds_write_b32 v15, v210 offset:15232                        // 000000004B24: D81A3B80 0000D20F
	ds_write_b32 v15, v211 offset:16288                        // 000000004B2C: D81A3FA0 0000D30F
	ds_write_b32 v13, v180                                     // 000000004B34: D81A0000 0000B40D
	ds_write_b32 v13, v181 offset:1056                         // 000000004B3C: D81A0420 0000B50D
	ds_write_b32 v13, v182 offset:2176                         // 000000004B44: D81A0880 0000B60D
	ds_write_b32 v13, v183 offset:3232                         // 000000004B4C: D81A0CA0 0000B70D
	ds_write_b32 v13, v184 offset:4352                         // 000000004B54: D81A1100 0000B80D
	ds_write_b32 v13, v185 offset:5408                         // 000000004B5C: D81A1520 0000B90D
	ds_write_b32 v13, v186 offset:6528                         // 000000004B64: D81A1980 0000BA0D
	ds_write_b32 v13, v187 offset:7584                         // 000000004B6C: D81A1DA0 0000BB0D
	buffer_load_dword v180, v232, s[16:19], 0 idxen            // 000000004B74: E0502000 8004B4E8
	buffer_load_dword v181, v233, s[16:19], 0 idxen            // 000000004B7C: E0502000 8004B5E9
	s_mul_i32 s60, 4, s7                                       // 000000004B84: 923C0784
	s_cmp_lt_i32 0, s72                                        // 000000004B88: BF044880
	s_cselect_b32 s60, s60, 0                                  // 000000004B8C: 853C803C
	v_add_u32_e32 v232, s60, v232                              // 000000004B90: 69D1D03C
	v_add_u32_e32 v233, s60, v233                              // 000000004B94: 69D3D23C
	buffer_load_dword v182, v232, s[16:19], 0 idxen            // 000000004B98: E0502000 8004B6E8
	buffer_load_dword v183, v233, s[16:19], 0 idxen            // 000000004BA0: E0502000 8004B7E9
	s_mul_i32 s60, 4, s7                                       // 000000004BA8: 923C0784
	s_cmp_lt_i32 0, s72                                        // 000000004BAC: BF044880
	s_cselect_b32 s60, s60, 0                                  // 000000004BB0: 853C803C
	v_add_u32_e32 v232, s60, v232                              // 000000004BB4: 69D1D03C
	v_add_u32_e32 v233, s60, v233                              // 000000004BB8: 69D3D23C
	buffer_load_dword v184, v232, s[16:19], 0 idxen            // 000000004BBC: E0502000 8004B8E8
	buffer_load_dword v185, v233, s[16:19], 0 idxen            // 000000004BC4: E0502000 8004B9E9
	s_mul_i32 s60, 4, s7                                       // 000000004BCC: 923C0784
	s_cmp_lt_i32 0, s72                                        // 000000004BD0: BF044880
	s_cselect_b32 s60, s60, 0                                  // 000000004BD4: 853C803C
	v_add_u32_e32 v232, s60, v232                              // 000000004BD8: 69D1D03C
	v_add_u32_e32 v233, s60, v233                              // 000000004BDC: 69D3D23C
	buffer_load_dword v186, v232, s[16:19], 0 idxen            // 000000004BE0: E0502000 8004BAE8
	buffer_load_dword v187, v233, s[16:19], 0 idxen            // 000000004BE8: E0502000 8004BBE9
	s_mul_i32 s60, 4, s7                                       // 000000004BF0: 923C0784
	s_cmp_lt_i32 1, s72                                        // 000000004BF4: BF044881
	s_cselect_b32 s60, s60, 0                                  // 000000004BF8: 853C803C
	v_add_u32_e32 v232, s60, v232                              // 000000004BFC: 69D1D03C
	v_add_u32_e32 v233, s60, v233                              // 000000004C00: 69D3D23C
	s_waitcnt lgkmcnt(0)                                       // 000000004C04: BF8CC07F
	s_barrier                                                  // 000000004C08: BF8A0000
	ds_read_b128 a[24:27], v25 offset:8704                     // 000000004C0C: DBFE2200 18000019
	ds_read_b128 a[28:31], v25 offset:8960                     // 000000004C14: DBFE2300 1C000019
	ds_read_b128 a[32:35], v25 offset:13056                    // 000000004C1C: DBFE3300 20000019
	ds_read_b128 a[36:39], v25 offset:13312                    // 000000004C24: DBFE3400 24000019
	ds_read_b128 a[0:3], v24                                   // 000000004C2C: DBFE0000 00000018
	ds_read_b128 a[4:7], v24 offset:512                        // 000000004C34: DBFE0200 04000018
	s_waitcnt vmcnt(16) lgkmcnt(0)                             // 000000004C3C: BF8C4070
	s_barrier                                                  // 000000004C40: BF8A0000
	s_cmp_lt_i32 1, s72                                        // 000000004C44: BF044881
	s_cbranch_scc1 label_039B                                  // 000000004C48: BF850008
	v_mov_b32_e32 v188, 0                                      // 000000004C4C: 7F780280
	v_mov_b32_e32 v189, 0                                      // 000000004C50: 7F7A0280
	v_mov_b32_e32 v190, 0                                      // 000000004C54: 7F7C0280
	v_mov_b32_e32 v191, 0                                      // 000000004C58: 7F7E0280
	v_mov_b32_e32 v192, 0                                      // 000000004C5C: 7F800280
	v_mov_b32_e32 v193, 0                                      // 000000004C60: 7F820280
	v_mov_b32_e32 v194, 0                                      // 000000004C64: 7F840280
	v_mov_b32_e32 v195, 0                                      // 000000004C68: 7F860280

0000000000004c6c <label_039B>:
	v_perm_b32 v204, v189, v188, s63                           // 000000004C6C: D1ED00CC 00FF79BD
	v_perm_b32 v205, v189, v188, s64                           // 000000004C74: D1ED00CD 010379BD
	v_perm_b32 v206, v191, v190, s63                           // 000000004C7C: D1ED00CE 00FF7DBF
	v_perm_b32 v207, v191, v190, s64                           // 000000004C84: D1ED00CF 01037DBF
	v_perm_b32 v208, v193, v192, s63                           // 000000004C8C: D1ED00D0 00FF81C1
	v_perm_b32 v209, v193, v192, s64                           // 000000004C94: D1ED00D1 010381C1
	v_perm_b32 v210, v195, v194, s63                           // 000000004C9C: D1ED00D2 00FF85C3
	v_perm_b32 v211, v195, v194, s64                           // 000000004CA4: D1ED00D3 010385C3
	ds_write_b32 v15, v204 offset:8704                         // 000000004CAC: D81A2200 0000CC0F
	ds_write_b32 v15, v205 offset:9760                         // 000000004CB4: D81A2620 0000CD0F
	ds_write_b32 v15, v206 offset:10880                        // 000000004CBC: D81A2A80 0000CE0F
	ds_write_b32 v15, v207 offset:11936                        // 000000004CC4: D81A2EA0 0000CF0F
	ds_write_b32 v15, v208 offset:13056                        // 000000004CCC: D81A3300 0000D00F
	ds_write_b32 v15, v209 offset:14112                        // 000000004CD4: D81A3720 0000D10F
	ds_write_b32 v15, v210 offset:15232                        // 000000004CDC: D81A3B80 0000D20F
	ds_write_b32 v15, v211 offset:16288                        // 000000004CE4: D81A3FA0 0000D30F
	ds_write_b32 v13, v188                                     // 000000004CEC: D81A0000 0000BC0D
	ds_write_b32 v13, v189 offset:1056                         // 000000004CF4: D81A0420 0000BD0D
	ds_write_b32 v13, v190 offset:2176                         // 000000004CFC: D81A0880 0000BE0D
	ds_write_b32 v13, v191 offset:3232                         // 000000004D04: D81A0CA0 0000BF0D
	ds_write_b32 v13, v192 offset:4352                         // 000000004D0C: D81A1100 0000C00D
	ds_write_b32 v13, v193 offset:5408                         // 000000004D14: D81A1520 0000C10D
	ds_write_b32 v13, v194 offset:6528                         // 000000004D1C: D81A1980 0000C20D
	ds_write_b32 v13, v195 offset:7584                         // 000000004D24: D81A1DA0 0000C30D
	buffer_load_dword v188, v232, s[16:19], 0 idxen            // 000000004D2C: E0502000 8004BCE8
	buffer_load_dword v189, v233, s[16:19], 0 idxen            // 000000004D34: E0502000 8004BDE9
	s_mul_i32 s60, 4, s7                                       // 000000004D3C: 923C0784
	s_cmp_lt_i32 1, s72                                        // 000000004D40: BF044881
	s_cselect_b32 s60, s60, 0                                  // 000000004D44: 853C803C
	v_add_u32_e32 v232, s60, v232                              // 000000004D48: 69D1D03C
	v_add_u32_e32 v233, s60, v233                              // 000000004D4C: 69D3D23C
	buffer_load_dword v190, v232, s[16:19], 0 idxen            // 000000004D50: E0502000 8004BEE8
	buffer_load_dword v191, v233, s[16:19], 0 idxen            // 000000004D58: E0502000 8004BFE9
	s_mul_i32 s60, 4, s7                                       // 000000004D60: 923C0784
	s_cmp_lt_i32 1, s72                                        // 000000004D64: BF044881
	s_cselect_b32 s60, s60, 0                                  // 000000004D68: 853C803C
	v_add_u32_e32 v232, s60, v232                              // 000000004D6C: 69D1D03C
	v_add_u32_e32 v233, s60, v233                              // 000000004D70: 69D3D23C
	buffer_load_dword v192, v232, s[16:19], 0 idxen            // 000000004D74: E0502000 8004C0E8
	buffer_load_dword v193, v233, s[16:19], 0 idxen            // 000000004D7C: E0502000 8004C1E9
	s_mul_i32 s60, 4, s7                                       // 000000004D84: 923C0784
	s_cmp_lt_i32 1, s72                                        // 000000004D88: BF044881
	s_cselect_b32 s60, s60, 0                                  // 000000004D8C: 853C803C
	v_add_u32_e32 v232, s60, v232                              // 000000004D90: 69D1D03C
	v_add_u32_e32 v233, s60, v233                              // 000000004D94: 69D3D23C
	buffer_load_dword v194, v232, s[16:19], 0 idxen            // 000000004D98: E0502000 8004C2E8
	buffer_load_dword v195, v233, s[16:19], 0 idxen            // 000000004DA0: E0502000 8004C3E9
	s_mul_i32 s60, 4, s7                                       // 000000004DA8: 923C0784
	s_cmp_lt_i32 2, s72                                        // 000000004DAC: BF044882
	s_cselect_b32 s60, s60, 0                                  // 000000004DB0: 853C803C
	v_add_u32_e32 v232, s60, v232                              // 000000004DB4: 69D1D03C
	v_add_u32_e32 v233, s60, v233                              // 000000004DB8: 69D3D23C
	s_waitcnt lgkmcnt(0)                                       // 000000004DBC: BF8CC07F
	s_barrier                                                  // 000000004DC0: BF8A0000
	ds_read_b128 a[40:43], v25 offset:8704                     // 000000004DC4: DBFE2200 28000019
	ds_read_b128 a[44:47], v25 offset:8960                     // 000000004DCC: DBFE2300 2C000019
	ds_read_b128 a[48:51], v25 offset:13056                    // 000000004DD4: DBFE3300 30000019
	ds_read_b128 a[52:55], v25 offset:13312                    // 000000004DDC: DBFE3400 34000019
	ds_read_b128 a[8:11], v24                                  // 000000004DE4: DBFE0000 08000018
	ds_read_b128 a[12:15], v24 offset:512                      // 000000004DEC: DBFE0200 0C000018
	s_waitcnt vmcnt(16) lgkmcnt(0)                             // 000000004DF4: BF8C4070
	s_barrier                                                  // 000000004DF8: BF8A0000
	s_cmp_lt_i32 2, s72                                        // 000000004DFC: BF044882
	s_cbranch_scc1 label_0409                                  // 000000004E00: BF850008
	v_mov_b32_e32 v196, 0                                      // 000000004E04: 7F880280
	v_mov_b32_e32 v197, 0                                      // 000000004E08: 7F8A0280
	v_mov_b32_e32 v198, 0                                      // 000000004E0C: 7F8C0280
	v_mov_b32_e32 v199, 0                                      // 000000004E10: 7F8E0280
	v_mov_b32_e32 v200, 0                                      // 000000004E14: 7F900280
	v_mov_b32_e32 v201, 0                                      // 000000004E18: 7F920280
	v_mov_b32_e32 v202, 0                                      // 000000004E1C: 7F940280
	v_mov_b32_e32 v203, 0                                      // 000000004E20: 7F960280

0000000000004e24 <label_0409>:
	v_perm_b32 v204, v197, v196, s63                           // 000000004E24: D1ED00CC 00FF89C5
	v_perm_b32 v205, v197, v196, s64                           // 000000004E2C: D1ED00CD 010389C5
	v_perm_b32 v206, v199, v198, s63                           // 000000004E34: D1ED00CE 00FF8DC7
	v_perm_b32 v207, v199, v198, s64                           // 000000004E3C: D1ED00CF 01038DC7
	v_perm_b32 v208, v201, v200, s63                           // 000000004E44: D1ED00D0 00FF91C9
	v_perm_b32 v209, v201, v200, s64                           // 000000004E4C: D1ED00D1 010391C9
	v_perm_b32 v210, v203, v202, s63                           // 000000004E54: D1ED00D2 00FF95CB
	v_perm_b32 v211, v203, v202, s64                           // 000000004E5C: D1ED00D3 010395CB
	ds_write_b32 v15, v204 offset:8704                         // 000000004E64: D81A2200 0000CC0F
	ds_write_b32 v15, v205 offset:9760                         // 000000004E6C: D81A2620 0000CD0F
	ds_write_b32 v15, v206 offset:10880                        // 000000004E74: D81A2A80 0000CE0F
	ds_write_b32 v15, v207 offset:11936                        // 000000004E7C: D81A2EA0 0000CF0F
	ds_write_b32 v15, v208 offset:13056                        // 000000004E84: D81A3300 0000D00F
	ds_write_b32 v15, v209 offset:14112                        // 000000004E8C: D81A3720 0000D10F
	ds_write_b32 v15, v210 offset:15232                        // 000000004E94: D81A3B80 0000D20F
	ds_write_b32 v15, v211 offset:16288                        // 000000004E9C: D81A3FA0 0000D30F
	ds_write_b32 v13, v196                                     // 000000004EA4: D81A0000 0000C40D
	ds_write_b32 v13, v197 offset:1056                         // 000000004EAC: D81A0420 0000C50D
	ds_write_b32 v13, v198 offset:2176                         // 000000004EB4: D81A0880 0000C60D
	ds_write_b32 v13, v199 offset:3232                         // 000000004EBC: D81A0CA0 0000C70D
	ds_write_b32 v13, v200 offset:4352                         // 000000004EC4: D81A1100 0000C80D
	ds_write_b32 v13, v201 offset:5408                         // 000000004ECC: D81A1520 0000C90D
	ds_write_b32 v13, v202 offset:6528                         // 000000004ED4: D81A1980 0000CA0D
	ds_write_b32 v13, v203 offset:7584                         // 000000004EDC: D81A1DA0 0000CB0D
	buffer_load_dword v196, v232, s[16:19], 0 idxen            // 000000004EE4: E0502000 8004C4E8
	buffer_load_dword v197, v233, s[16:19], 0 idxen            // 000000004EEC: E0502000 8004C5E9
	s_mul_i32 s60, 4, s7                                       // 000000004EF4: 923C0784
	s_cmp_lt_i32 2, s72                                        // 000000004EF8: BF044882
	s_cselect_b32 s60, s60, 0                                  // 000000004EFC: 853C803C
	v_add_u32_e32 v232, s60, v232                              // 000000004F00: 69D1D03C
	v_add_u32_e32 v233, s60, v233                              // 000000004F04: 69D3D23C
	buffer_load_dword v198, v232, s[16:19], 0 idxen            // 000000004F08: E0502000 8004C6E8
	buffer_load_dword v199, v233, s[16:19], 0 idxen            // 000000004F10: E0502000 8004C7E9
	s_mul_i32 s60, 4, s7                                       // 000000004F18: 923C0784
	s_cmp_lt_i32 2, s72                                        // 000000004F1C: BF044882
	s_cselect_b32 s60, s60, 0                                  // 000000004F20: 853C803C
	v_add_u32_e32 v232, s60, v232                              // 000000004F24: 69D1D03C
	v_add_u32_e32 v233, s60, v233                              // 000000004F28: 69D3D23C
	buffer_load_dword v200, v232, s[16:19], 0 idxen            // 000000004F2C: E0502000 8004C8E8
	buffer_load_dword v201, v233, s[16:19], 0 idxen            // 000000004F34: E0502000 8004C9E9
	s_mul_i32 s60, 4, s7                                       // 000000004F3C: 923C0784
	s_cmp_lt_i32 2, s72                                        // 000000004F40: BF044882
	s_cselect_b32 s60, s60, 0                                  // 000000004F44: 853C803C
	v_add_u32_e32 v232, s60, v232                              // 000000004F48: 69D1D03C
	v_add_u32_e32 v233, s60, v233                              // 000000004F4C: 69D3D23C
	buffer_load_dword v202, v232, s[16:19], 0 idxen            // 000000004F50: E0502000 8004CAE8
	buffer_load_dword v203, v233, s[16:19], 0 idxen            // 000000004F58: E0502000 8004CBE9
	s_mul_i32 s60, 4, s7                                       // 000000004F60: 923C0784
	s_cmp_lt_i32 3, s72                                        // 000000004F64: BF044883
	s_cselect_b32 s60, s60, 0                                  // 000000004F68: 853C803C
	v_add_u32_e32 v232, s60, v232                              // 000000004F6C: 69D1D03C
	v_add_u32_e32 v233, s60, v233                              // 000000004F70: 69D3D23C
	s_waitcnt lgkmcnt(0)                                       // 000000004F74: BF8CC07F
	s_barrier                                                  // 000000004F78: BF8A0000
	ds_read_b128 a[56:59], v25 offset:8704                     // 000000004F7C: DBFE2200 38000019
	ds_read_b128 a[60:63], v25 offset:8960                     // 000000004F84: DBFE2300 3C000019
	ds_read_b128 a[64:67], v25 offset:13056                    // 000000004F8C: DBFE3300 40000019
	ds_read_b128 a[68:71], v25 offset:13312                    // 000000004F94: DBFE3400 44000019
	ds_read_b128 a[16:19], v24                                 // 000000004F9C: DBFE0000 10000018
	ds_read_b128 a[20:23], v24 offset:512                      // 000000004FA4: DBFE0200 14000018
	s_waitcnt vmcnt(16) lgkmcnt(0)                             // 000000004FAC: BF8C4070
	s_barrier                                                  // 000000004FB0: BF8A0000
	s_cmp_lt_i32 0, s72                                        // 000000004FB4: BF044880
	s_cbranch_scc1 label_0477                                  // 000000004FB8: BF850008
	v_mov_b32_e32 v180, 0                                      // 000000004FBC: 7F680280
	v_mov_b32_e32 v181, 0                                      // 000000004FC0: 7F6A0280
	v_mov_b32_e32 v182, 0                                      // 000000004FC4: 7F6C0280
	v_mov_b32_e32 v183, 0                                      // 000000004FC8: 7F6E0280
	v_mov_b32_e32 v184, 0                                      // 000000004FCC: 7F700280
	v_mov_b32_e32 v185, 0                                      // 000000004FD0: 7F720280
	v_mov_b32_e32 v186, 0                                      // 000000004FD4: 7F740280
	v_mov_b32_e32 v187, 0                                      // 000000004FD8: 7F760280

0000000000004fdc <label_0477>:
	ds_write_b32 v13, v180                                     // 000000004FDC: D81A0000 0000B40D
	ds_write_b32 v13, v181 offset:1056                         // 000000004FE4: D81A0420 0000B50D
	ds_write_b32 v13, v182 offset:2176                         // 000000004FEC: D81A0880 0000B60D
	ds_write_b32 v13, v183 offset:3232                         // 000000004FF4: D81A0CA0 0000B70D
	ds_write_b32 v13, v184 offset:4352                         // 000000004FFC: D81A1100 0000B80D
	ds_write_b32 v13, v185 offset:5408                         // 000000005004: D81A1520 0000B90D
	ds_write_b32 v13, v186 offset:6528                         // 00000000500C: D81A1980 0000BA0D
	ds_write_b32 v13, v187 offset:7584                         // 000000005014: D81A1DA0 0000BB0D
	s_mov_b32 s71, s5                                          // 00000000501C: BEC70005
	v_lshrrev_b32_e32 v32, 4, v0                               // 000000005020: 20400084
	v_and_b32_e32 v33, 1, v32                                  // 000000005024: 26424081
	v_lshlrev_b32_e32 v33, 1, v33                              // 000000005028: 24424281
	v_mul_i32_i24_e32 v33, s71, v33                            // 00000000502C: 0C424247
	v_and_b32_e32 v34, 2, v32                                  // 000000005030: 26444082
	v_lshlrev_b32_e32 v34, 5, v34                              // 000000005034: 24444485
	v_add_u32_e32 v33, v34, v33                                // 000000005038: 68424322
	v_and_b32_e32 v32, 15, v0                                  // 00000000503C: 2640008F
	v_lshlrev_b32_e32 v32, 2, v32                              // 000000005040: 24404082
	v_add_u32_e32 v1, v32, v33                                 // 000000005044: 68024320
	s_mul_i32 s60, s46, s71                                    // 000000005048: 923C472E
	s_mul_i32 s60, s60, 4                                      // 00000000504C: 923C843C
	v_add_u32_e32 v1, s60, v1                                  // 000000005050: 6802023C
	v_add_u32_e32 v2, s71, v1                                  // 000000005054: 68040247
	s_mul_i32 s60, 16, s71                                     // 000000005058: 923C4790
	v_add_u32_e32 v3, s60, v1                                  // 00000000505C: 6806023C
	v_add_u32_e32 v4, s60, v2                                  // 000000005060: 6808043C
	s_mov_b32 s71, s51                                         // 000000005064: BEC70033
	v_lshrrev_b32_e32 v32, 4, v0                               // 000000005068: 20400084
	v_and_b32_e32 v33, 1, v32                                  // 00000000506C: 26424081
	v_lshlrev_b32_e32 v33, 1, v33                              // 000000005070: 24424281
	v_mul_i32_i24_e32 v33, s71, v33                            // 000000005074: 0C424247
	v_and_b32_e32 v34, 2, v32                                  // 000000005078: 26444082
	v_lshlrev_b32_e32 v34, 5, v34                              // 00000000507C: 24444485
	v_add_u32_e32 v33, v34, v33                                // 000000005080: 68424322
	v_and_b32_e32 v32, 15, v0                                  // 000000005084: 2640008F
	v_lshlrev_b32_e32 v32, 2, v32                              // 000000005088: 24404082
	v_add_u32_e32 v232, v32, v33                               // 00000000508C: 69D04320
	s_mul_i32 s60, s46, s71                                    // 000000005090: 923C472E
	s_mul_i32 s60, s60, 4                                      // 000000005094: 923C843C
	v_add_u32_e32 v232, s60, v232                              // 000000005098: 69D1D03C
	v_add_u32_e32 v233, s71, v232                              // 00000000509C: 69D3D047
	s_mul_i32 s60, 16, s71                                     // 0000000050A0: 923C4790
	v_add_u32_e32 v234, s60, v232                              // 0000000050A4: 69D5D03C
	v_add_u32_e32 v235, s60, v233                              // 0000000050A8: 69D7D23C
	v_lshrrev_b32_e32 v1, 2, v1                                // 0000000050AC: 20020282
	v_lshrrev_b32_e32 v2, 2, v2                                // 0000000050B0: 20040482
	v_lshrrev_b32_e32 v3, 2, v3                                // 0000000050B4: 20060682
	v_lshrrev_b32_e32 v4, 2, v4                                // 0000000050B8: 20080882
	v_lshrrev_b32_e32 v232, 2, v232                            // 0000000050BC: 21D1D082
	v_lshrrev_b32_e32 v233, 2, v233                            // 0000000050C0: 21D3D282
	v_lshrrev_b32_e32 v234, 2, v234                            // 0000000050C4: 21D5D482
	v_lshrrev_b32_e32 v235, 2, v235                            // 0000000050C8: 21D7D682
	buffer_load_dword v36, v1, s[8:11], 0 idxen                // 0000000050CC: E0502000 80022401
	buffer_load_dword v37, v2, s[8:11], 0 idxen                // 0000000050D4: E0502000 80022502
	buffer_load_dword v38, v3, s[8:11], 0 idxen                // 0000000050DC: E0502000 80022603
	buffer_load_dword v39, v4, s[8:11], 0 idxen                // 0000000050E4: E0502000 80022704
	buffer_load_dword v44, v232, s[20:23], 0 idxen             // 0000000050EC: E0502000 80052CE8
	buffer_load_dword v45, v233, s[20:23], 0 idxen             // 0000000050F4: E0502000 80052DE9
	buffer_load_dword v46, v234, s[20:23], 0 idxen             // 0000000050FC: E0502000 80052EEA
	buffer_load_dword v47, v235, s[20:23], 0 idxen             // 000000005104: E0502000 80052FEB
	s_waitcnt lgkmcnt(0)                                       // 00000000510C: BF8CC07F
	s_barrier                                                  // 000000005110: BF8A0000
	ds_read_b128 a[72:75], v24                                 // 000000005114: DBFE0000 48000018
	ds_read_b128 a[76:79], v24 offset:512                      // 00000000511C: DBFE0200 4C000018
	v_add_u32_e32 v1, s68, v1                                  // 000000005124: 68020244
	v_add_u32_e32 v2, s68, v2                                  // 000000005128: 68040444
	v_add_u32_e32 v3, s68, v3                                  // 00000000512C: 68060644
	v_add_u32_e32 v4, s68, v4                                  // 000000005130: 68080844
	v_add_u32_e32 v232, s100, v232                             // 000000005134: 69D1D064
	v_add_u32_e32 v233, s100, v233                             // 000000005138: 69D3D264
	v_add_u32_e32 v234, s100, v234                             // 00000000513C: 69D5D464
	v_add_u32_e32 v235, s100, v235                             // 000000005140: 69D7D664
	s_waitcnt vmcnt(16) lgkmcnt(0)                             // 000000005144: BF8C4070
	s_barrier                                                  // 000000005148: BF8A0000
	s_cmp_lt_i32 1, s72                                        // 00000000514C: BF044881
	s_cbranch_scc1 label_04DD                                  // 000000005150: BF850008
	v_mov_b32_e32 v188, 0                                      // 000000005154: 7F780280
	v_mov_b32_e32 v189, 0                                      // 000000005158: 7F7A0280
	v_mov_b32_e32 v190, 0                                      // 00000000515C: 7F7C0280
	v_mov_b32_e32 v191, 0                                      // 000000005160: 7F7E0280
	v_mov_b32_e32 v192, 0                                      // 000000005164: 7F800280
	v_mov_b32_e32 v193, 0                                      // 000000005168: 7F820280
	v_mov_b32_e32 v194, 0                                      // 00000000516C: 7F840280
	v_mov_b32_e32 v195, 0                                      // 000000005170: 7F860280

0000000000005174 <label_04DD>:
	ds_write_b32 v13, v188                                     // 000000005174: D81A0000 0000BC0D
	ds_write_b32 v13, v189 offset:1056                         // 00000000517C: D81A0420 0000BD0D
	ds_write_b32 v13, v190 offset:2176                         // 000000005184: D81A0880 0000BE0D
	ds_write_b32 v13, v191 offset:3232                         // 00000000518C: D81A0CA0 0000BF0D
	ds_write_b32 v13, v192 offset:4352                         // 000000005194: D81A1100 0000C00D
	ds_write_b32 v13, v193 offset:5408                         // 00000000519C: D81A1520 0000C10D
	ds_write_b32 v13, v194 offset:6528                         // 0000000051A4: D81A1980 0000C20D
	ds_write_b32 v13, v195 offset:7584                         // 0000000051AC: D81A1DA0 0000C30D
	buffer_load_dword v40, v1, s[8:11], 0 idxen                // 0000000051B4: E0502000 80022801
	buffer_load_dword v41, v2, s[8:11], 0 idxen                // 0000000051BC: E0502000 80022902
	buffer_load_dword v42, v3, s[8:11], 0 idxen                // 0000000051C4: E0502000 80022A03
	buffer_load_dword v43, v4, s[8:11], 0 idxen                // 0000000051CC: E0502000 80022B04
	buffer_load_dword v48, v232, s[20:23], 0 idxen             // 0000000051D4: E0502000 800530E8
	buffer_load_dword v49, v233, s[20:23], 0 idxen             // 0000000051DC: E0502000 800531E9
	buffer_load_dword v50, v234, s[20:23], 0 idxen             // 0000000051E4: E0502000 800532EA
	buffer_load_dword v51, v235, s[20:23], 0 idxen             // 0000000051EC: E0502000 800533EB
	s_waitcnt lgkmcnt(0)                                       // 0000000051F4: BF8CC07F
	s_barrier                                                  // 0000000051F8: BF8A0000
	ds_read_b128 a[80:83], v24                                 // 0000000051FC: DBFE0000 50000018
	ds_read_b128 a[84:87], v24 offset:512                      // 000000005204: DBFE0200 54000018
	s_add_u32 s60, 64, s59                                     // 00000000520C: 803C3BC0
	s_cmp_lt_u32 s60, s58                                      // 000000005210: BF0A3A3C
	s_cselect_b32 s68, s68, 0                                  // 000000005214: 85448044
	s_cselect_b32 s100, s100, 0                                // 000000005218: 85648064
	v_add_u32_e32 v1, s68, v1                                  // 00000000521C: 68020244
	v_add_u32_e32 v2, s68, v2                                  // 000000005220: 68040444
	v_add_u32_e32 v3, s68, v3                                  // 000000005224: 68060644
	;; [unrolled: 1-line block ×3, first 2 shown]
	v_add_u32_e32 v232, s100, v232                             // 00000000522C: 69D1D064
	v_add_u32_e32 v233, s100, v233                             // 000000005230: 69D3D264
	v_add_u32_e32 v234, s100, v234                             // 000000005234: 69D5D464
	v_add_u32_e32 v235, s100, v235                             // 000000005238: 69D7D664
	s_waitcnt vmcnt(16) lgkmcnt(0)                             // 00000000523C: BF8C4070
	s_barrier                                                  // 000000005240: BF8A0000
	s_cmp_lt_i32 2, s72                                        // 000000005244: BF044882
	s_cbranch_scc1 label_051B                                  // 000000005248: BF850008
	v_mov_b32_e32 v196, 0                                      // 00000000524C: 7F880280
	v_mov_b32_e32 v197, 0                                      // 000000005250: 7F8A0280
	v_mov_b32_e32 v198, 0                                      // 000000005254: 7F8C0280
	v_mov_b32_e32 v199, 0                                      // 000000005258: 7F8E0280
	v_mov_b32_e32 v200, 0                                      // 00000000525C: 7F900280
	v_mov_b32_e32 v201, 0                                      // 000000005260: 7F920280
	v_mov_b32_e32 v202, 0                                      // 000000005264: 7F940280
	v_mov_b32_e32 v203, 0                                      // 000000005268: 7F960280

000000000000526c <label_051B>:
	ds_write_b32 v13, v196                                     // 00000000526C: D81A0000 0000C40D
	ds_write_b32 v13, v197 offset:1056                         // 000000005274: D81A0420 0000C50D
	ds_write_b32 v13, v198 offset:2176                         // 00000000527C: D81A0880 0000C60D
	ds_write_b32 v13, v199 offset:3232                         // 000000005284: D81A0CA0 0000C70D
	ds_write_b32 v13, v200 offset:4352                         // 00000000528C: D81A1100 0000C80D
	ds_write_b32 v13, v201 offset:5408                         // 000000005294: D81A1520 0000C90D
	ds_write_b32 v13, v202 offset:6528                         // 00000000529C: D81A1980 0000CA0D
	ds_write_b32 v13, v203 offset:7584                         // 0000000052A4: D81A1DA0 0000CB0D
	s_waitcnt lgkmcnt(0)                                       // 0000000052AC: BF8CC07F
	s_barrier                                                  // 0000000052B0: BF8A0000
	ds_read_b128 a[88:91], v24                                 // 0000000052B4: DBFE0000 58000018
	ds_read_b128 a[92:95], v24 offset:512                      // 0000000052BC: DBFE0200 5C000018
	s_waitcnt vmcnt(8) lgkmcnt(0)                              // 0000000052C4: BF8C0078
	s_barrier                                                  // 0000000052C8: BF8A0000
	buffer_load_dword v11, s[24:27], 0 idxen lds               // 0000000052CC: E0512000 8006000B
	s_mov_b32 m0, s81                                          // 0000000052D4: BEFC0051
	v_add_u32_e32 v11, s69, v11                                // 0000000052D8: 68161645
	v_perm_b32 v100, v37, v36, s63                             // 0000000052DC: D1ED0064 00FE4925
	v_perm_b32 v101, v37, v36, s64                             // 0000000052E4: D1ED0065 01024925
	v_perm_b32 v102, v39, v38, s63                             // 0000000052EC: D1ED0066 00FE4D27
	v_perm_b32 v103, v39, v38, s64                             // 0000000052F4: D1ED0067 01024D27
	ds_write_b32 v15, v100 offset:4352                         // 0000000052FC: D81A1100 0000640F
	ds_write_b32 v15, v101 offset:5408                         // 000000005304: D81A1520 0000650F
	ds_write_b32 v15, v102 offset:6528                         // 00000000530C: D81A1980 0000660F
	ds_write_b32 v15, v103 offset:7584                         // 000000005314: D81A1DA0 0000670F
	ds_write_b32 v13, v36                                      // 00000000531C: D81A0000 0000240D
	ds_write_b32 v13, v37 offset:1056                          // 000000005324: D81A0420 0000250D
	ds_write_b32 v13, v38 offset:2176                          // 00000000532C: D81A0880 0000260D
	ds_write_b32 v13, v39 offset:3232                          // 000000005334: D81A0CA0 0000270D
	buffer_load_dword v11, s[24:27], 0 idxen lds               // 00000000533C: E0512000 8006000B
	s_add_u32 s60, 64, s59                                     // 000000005344: 803C3BC0
	s_cmp_lt_u32 s60, s58                                      // 000000005348: BF0A3A3C
	s_cselect_b32 s69, s69, 0                                  // 00000000534C: 85458045
	s_mov_b32 m0, s80                                          // 000000005350: BEFC0050
	v_add_u32_e32 v11, s69, v11                                // 000000005354: 68161645
	v_perm_b32 v104, v45, v44, s63                             // 000000005358: D1ED0068 00FE592D
	v_perm_b32 v105, v45, v44, s64                             // 000000005360: D1ED0069 0102592D
	v_perm_b32 v106, v47, v46, s63                             // 000000005368: D1ED006A 00FE5D2F
	v_perm_b32 v107, v47, v46, s64                             // 000000005370: D1ED006B 01025D2F
	ds_write_b32 v15, v104 offset:13056                        // 000000005378: D81A3300 0000680F
	ds_write_b32 v15, v105 offset:14112                        // 000000005380: D81A3720 0000690F
	ds_write_b32 v15, v106 offset:15232                        // 000000005388: D81A3B80 00006A0F
	ds_write_b32 v15, v107 offset:16288                        // 000000005390: D81A3FA0 00006B0F
	ds_write_b32 v13, v44 offset:8704                          // 000000005398: D81A2200 00002C0D
	ds_write_b32 v13, v45 offset:9760                          // 0000000053A0: D81A2620 00002D0D
	ds_write_b32 v13, v46 offset:10880                         // 0000000053A8: D81A2A80 00002E0D
	ds_write_b32 v13, v47 offset:11936                         // 0000000053B0: D81A2EA0 00002F0D
	s_waitcnt vmcnt(1) lgkmcnt(0)                              // 0000000053B8: BF8C0071
	s_barrier                                                  // 0000000053BC: BF8A0000
	ds_read_b128 a[96:99], v12                                 // 0000000053C0: DBFE0000 6000000C
	ds_read_b128 a[100:103], v12 offset:512                    // 0000000053C8: DBFE0200 6400000C
	ds_read_b128 a[104:107], v12 offset:2176                   // 0000000053D0: DBFE0880 6800000C
	ds_read_b128 a[108:111], v12 offset:2688                   // 0000000053D8: DBFE0A80 6C00000C
	ds_read_b128 v[108:111], v12 offset:8704                   // 0000000053E0: D9FE2200 6C00000C
	ds_read_b128 v[112:115], v12 offset:9216                   // 0000000053E8: D9FE2400 7000000C
	ds_read_b128 v[116:119], v12 offset:10880                  // 0000000053F0: D9FE2A80 7400000C
	ds_read_b128 v[120:123], v12 offset:11392                  // 0000000053F8: D9FE2C80 7800000C
	ds_read_b32 v140, v23 offset:39424                         // 000000005400: D86C9A00 8C000017
	ds_read_b32 v144, v23 offset:39488                         // 000000005408: D86C9A40 90000017
	ds_read_b32 v176, v23 offset:39680                         // 000000005410: D86C9B00 B0000017
	ds_read_b32 v177, v23 offset:39744                         // 000000005418: D86C9B40 B1000017
	v_accvgpr_write_b32 a112, 0                                // 000000005420: D3D94070 18000080
	v_mov_b32_e32 v180, 0                                      // 000000005428: 7F680280
	v_accvgpr_write_b32 a113, 0                                // 00000000542C: D3D94071 18000080
	v_mov_b32_e32 v181, 0                                      // 000000005434: 7F6A0280
	v_accvgpr_write_b32 a114, 0                                // 000000005438: D3D94072 18000080
	v_mov_b32_e32 v182, 0                                      // 000000005440: 7F6C0280
	v_accvgpr_write_b32 a115, 0                                // 000000005444: D3D94073 18000080
	v_mov_b32_e32 v183, 0                                      // 00000000544C: 7F6E0280
	v_accvgpr_write_b32 a116, 0                                // 000000005450: D3D94074 18000080
	v_mov_b32_e32 v184, 0                                      // 000000005458: 7F700280
	v_accvgpr_write_b32 a117, 0                                // 00000000545C: D3D94075 18000080
	v_mov_b32_e32 v185, 0                                      // 000000005464: 7F720280
	v_accvgpr_write_b32 a118, 0                                // 000000005468: D3D94076 18000080
	v_mov_b32_e32 v186, 0                                      // 000000005470: 7F740280
	v_accvgpr_write_b32 a119, 0                                // 000000005474: D3D94077 18000080
	v_mov_b32_e32 v187, 0                                      // 00000000547C: 7F760280
	v_accvgpr_write_b32 a120, 0                                // 000000005480: D3D94078 18000080
	v_mov_b32_e32 v188, 0                                      // 000000005488: 7F780280
	v_accvgpr_write_b32 a121, 0                                // 00000000548C: D3D94079 18000080
	v_mov_b32_e32 v189, 0                                      // 000000005494: 7F7A0280
	v_accvgpr_write_b32 a122, 0                                // 000000005498: D3D9407A 18000080
	v_mov_b32_e32 v190, 0                                      // 0000000054A0: 7F7C0280
	v_accvgpr_write_b32 a123, 0                                // 0000000054A4: D3D9407B 18000080
	v_mov_b32_e32 v191, 0                                      // 0000000054AC: 7F7E0280
	v_accvgpr_write_b32 a124, 0                                // 0000000054B0: D3D9407C 18000080
	v_mov_b32_e32 v192, 0                                      // 0000000054B8: 7F800280
	v_accvgpr_write_b32 a125, 0                                // 0000000054BC: D3D9407D 18000080
	v_mov_b32_e32 v193, 0                                      // 0000000054C4: 7F820280
	v_accvgpr_write_b32 a126, 0                                // 0000000054C8: D3D9407E 18000080
	v_mov_b32_e32 v194, 0                                      // 0000000054D0: 7F840280
	v_accvgpr_write_b32 a127, 0                                // 0000000054D4: D3D9407F 18000080
	v_mov_b32_e32 v195, 0                                      // 0000000054DC: 7F860280
	v_accvgpr_write_b32 a128, 0                                // 0000000054E0: D3D94080 18000080
	v_mov_b32_e32 v196, 0                                      // 0000000054E8: 7F880280
	v_accvgpr_write_b32 a129, 0                                // 0000000054EC: D3D94081 18000080
	v_mov_b32_e32 v197, 0                                      // 0000000054F4: 7F8A0280
	v_accvgpr_write_b32 a130, 0                                // 0000000054F8: D3D94082 18000080
	v_mov_b32_e32 v198, 0                                      // 000000005500: 7F8C0280
	v_accvgpr_write_b32 a131, 0                                // 000000005504: D3D94083 18000080
	v_mov_b32_e32 v199, 0                                      // 00000000550C: 7F8E0280
	v_accvgpr_write_b32 a132, 0                                // 000000005510: D3D94084 18000080
	v_mov_b32_e32 v200, 0                                      // 000000005518: 7F900280
	v_accvgpr_write_b32 a133, 0                                // 00000000551C: D3D94085 18000080
	v_mov_b32_e32 v201, 0                                      // 000000005524: 7F920280
	v_accvgpr_write_b32 a134, 0                                // 000000005528: D3D94086 18000080
	v_mov_b32_e32 v202, 0                                      // 000000005530: 7F940280
	v_accvgpr_write_b32 a135, 0                                // 000000005534: D3D94087 18000080
	v_mov_b32_e32 v203, 0                                      // 00000000553C: 7F960280
	v_accvgpr_write_b32 a136, 0                                // 000000005540: D3D94088 18000080
	v_mov_b32_e32 v204, 0                                      // 000000005548: 7F980280
	v_accvgpr_write_b32 a137, 0                                // 00000000554C: D3D94089 18000080
	v_mov_b32_e32 v205, 0                                      // 000000005554: 7F9A0280
	v_accvgpr_write_b32 a138, 0                                // 000000005558: D3D9408A 18000080
	v_mov_b32_e32 v206, 0                                      // 000000005560: 7F9C0280
	v_accvgpr_write_b32 a139, 0                                // 000000005564: D3D9408B 18000080
	v_mov_b32_e32 v207, 0                                      // 00000000556C: 7F9E0280
	v_accvgpr_write_b32 a140, 0                                // 000000005570: D3D9408C 18000080
	v_mov_b32_e32 v208, 0                                      // 000000005578: 7FA00280
	v_accvgpr_write_b32 a141, 0                                // 00000000557C: D3D9408D 18000080
	v_mov_b32_e32 v209, 0                                      // 000000005584: 7FA20280
	v_accvgpr_write_b32 a142, 0                                // 000000005588: D3D9408E 18000080
	v_mov_b32_e32 v210, 0                                      // 000000005590: 7FA40280
	v_accvgpr_write_b32 a143, 0                                // 000000005594: D3D9408F 18000080
	v_mov_b32_e32 v211, 0                                      // 00000000559C: 7FA60280
	v_accvgpr_write_b32 a144, 0                                // 0000000055A0: D3D94090 18000080
	v_mov_b32_e32 v212, 0                                      // 0000000055A8: 7FA80280
	v_accvgpr_write_b32 a145, 0                                // 0000000055AC: D3D94091 18000080
	v_mov_b32_e32 v213, 0                                      // 0000000055B4: 7FAA0280
	v_accvgpr_write_b32 a146, 0                                // 0000000055B8: D3D94092 18000080
	v_mov_b32_e32 v214, 0                                      // 0000000055C0: 7FAC0280
	v_accvgpr_write_b32 a147, 0                                // 0000000055C4: D3D94093 18000080
	v_mov_b32_e32 v215, 0                                      // 0000000055CC: 7FAE0280
	v_accvgpr_write_b32 a148, 0                                // 0000000055D0: D3D94094 18000080
	v_mov_b32_e32 v216, 0                                      // 0000000055D8: 7FB00280
	v_accvgpr_write_b32 a149, 0                                // 0000000055DC: D3D94095 18000080
	v_mov_b32_e32 v217, 0                                      // 0000000055E4: 7FB20280
	v_accvgpr_write_b32 a150, 0                                // 0000000055E8: D3D94096 18000080
	v_mov_b32_e32 v218, 0                                      // 0000000055F0: 7FB40280
	v_accvgpr_write_b32 a151, 0                                // 0000000055F4: D3D94097 18000080
	v_mov_b32_e32 v219, 0                                      // 0000000055FC: 7FB60280
	v_accvgpr_write_b32 a152, 0                                // 000000005600: D3D94098 18000080
	v_mov_b32_e32 v220, 0                                      // 000000005608: 7FB80280
	v_accvgpr_write_b32 a153, 0                                // 00000000560C: D3D94099 18000080
	v_mov_b32_e32 v221, 0                                      // 000000005614: 7FBA0280
	v_accvgpr_write_b32 a154, 0                                // 000000005618: D3D9409A 18000080
	v_mov_b32_e32 v222, 0                                      // 000000005620: 7FBC0280
	v_accvgpr_write_b32 a155, 0                                // 000000005624: D3D9409B 18000080
	v_mov_b32_e32 v223, 0                                      // 00000000562C: 7FBE0280
	v_accvgpr_write_b32 a156, 0                                // 000000005630: D3D9409C 18000080
	v_mov_b32_e32 v224, 0                                      // 000000005638: 7FC00280
	v_accvgpr_write_b32 a157, 0                                // 00000000563C: D3D9409D 18000080
	v_mov_b32_e32 v225, 0                                      // 000000005644: 7FC20280
	v_accvgpr_write_b32 a158, 0                                // 000000005648: D3D9409E 18000080
	v_mov_b32_e32 v226, 0                                      // 000000005650: 7FC40280
	v_accvgpr_write_b32 a159, 0                                // 000000005654: D3D9409F 18000080
	v_mov_b32_e32 v227, 0                                      // 00000000565C: 7FC60280
	v_mov_b32_e32 v156, 0                                      // 000000005660: 7F380280
	v_mov_b32_e32 v157, 0                                      // 000000005664: 7F3A0280
	v_mov_b32_e32 v158, 0                                      // 000000005668: 7F3C0280
	v_mov_b32_e32 v159, 0                                      // 00000000566C: 7F3E0280
	v_mov_b32_e32 v160, 0                                      // 000000005670: 7F400280
	v_mov_b32_e32 v161, 0                                      // 000000005674: 7F420280
	v_mov_b32_e32 v162, 0                                      // 000000005678: 7F440280
	v_mov_b32_e32 v163, 0                                      // 00000000567C: 7F460280
	v_mov_b32_e32 v148, 0                                      // 000000005680: 7F280280
	v_mov_b32_e32 v149, 0                                      // 000000005684: 7F2A0280
	v_mov_b32_e32 v150, 0                                      // 000000005688: 7F2C0280
	v_mov_b32_e32 v151, 0                                      // 00000000568C: 7F2E0280
	v_mov_b32_e32 v152, 0                                      // 000000005690: 7F300280
	v_mov_b32_e32 v153, 0                                      // 000000005694: 7F320280
	v_mov_b32_e32 v154, 0                                      // 000000005698: 7F340280
	v_mov_b32_e32 v155, 0                                      // 00000000569C: 7F360280
	s_waitcnt lgkmcnt(0)                                       // 0000000056A0: BF8CC07F
	s_barrier                                                  // 0000000056A4: BF8A0000
	buffer_load_dword v36, v1, s[8:11], 0 idxen                // 0000000056A8: E0502000 80022401
	buffer_load_dword v37, v2, s[8:11], 0 idxen                // 0000000056B0: E0502000 80022502
	buffer_load_dword v38, v3, s[8:11], 0 idxen                // 0000000056B8: E0502000 80022603
	buffer_load_dword v39, v4, s[8:11], 0 idxen                // 0000000056C0: E0502000 80022704
	buffer_load_dword v44, v232, s[20:23], 0 idxen             // 0000000056C8: E0502000 80052CE8
	buffer_load_dword v45, v233, s[20:23], 0 idxen             // 0000000056D0: E0502000 80052DE9
	buffer_load_dword v46, v234, s[20:23], 0 idxen             // 0000000056D8: E0502000 80052EEA
	buffer_load_dword v47, v235, s[20:23], 0 idxen             // 0000000056E0: E0502000 80052FEB
	buffer_load_dword v11, s[24:27], 0 idxen lds               // 0000000056E8: E0512000 8006000B
	s_add_u32 s60, 0x60, s59                                   // 0000000056F0: 803C3BFF 00000060
	s_cmp_lt_u32 s60, s58                                      // 0000000056F8: BF0A3A3C
	s_cselect_b32 s68, s68, 0                                  // 0000000056FC: 85448044
	s_cselect_b32 s100, s100, 0                                // 000000005700: 85648064
	s_cselect_b32 s69, s69, 0                                  // 000000005704: 85458045
	s_mov_b32 m0, s81                                          // 000000005708: BEFC0051
	v_add_u32_e32 v11, s69, v11                                // 00000000570C: 68161645
	v_add_u32_e32 v1, s68, v1                                  // 000000005710: 68020244
	v_add_u32_e32 v2, s68, v2                                  // 000000005714: 68040444
	;; [unrolled: 1-line block ×3, first 2 shown]
	v_add_u32_e32 v4, s68, v4                                  // 00000000571C: 68080844
	v_add_u32_e32 v232, s100, v232                             // 000000005720: 69D1D064
	v_add_u32_e32 v233, s100, v233                             // 000000005724: 69D3D264
	v_add_u32_e32 v234, s100, v234                             // 000000005728: 69D5D464
	v_add_u32_e32 v235, s100, v235                             // 00000000572C: 69D7D664
	v_mul_f32_e32 v140, s48, v140                              // 000000005730: 0B191830
	v_mul_f32_e32 v144, s48, v144                              // 000000005734: 0B212030
	v_perm_b32 v100, v41, v40, s63                             // 000000005738: D1ED0064 00FE5129
	v_perm_b32 v101, v41, v40, s64                             // 000000005740: D1ED0065 01025129
	v_perm_b32 v102, v43, v42, s63                             // 000000005748: D1ED0066 00FE552B
	v_perm_b32 v103, v43, v42, s64                             // 000000005750: D1ED0067 0102552B
	v_perm_b32 v104, v49, v48, s63                             // 000000005758: D1ED0068 00FE6131
	v_perm_b32 v105, v49, v48, s64                             // 000000005760: D1ED0069 01026131
	v_perm_b32 v106, v51, v50, s63                             // 000000005768: D1ED006A 00FE6533
	v_perm_b32 v107, v51, v50, s64                             // 000000005770: D1ED006B 01026533
	v_mov_b32_dpp v143, v140 quad_perm:[3,3,3,3] row_mask:0xf bank_mask:0xf// 000000005778: 7F1E02FA FF00FF8C
	v_mov_b32_dpp v142, v140 quad_perm:[2,2,2,2] row_mask:0xf bank_mask:0xf// 000000005780: 7F1C02FA FF00AA8C
	v_mov_b32_dpp v141, v140 quad_perm:[1,1,1,1] row_mask:0xf bank_mask:0xf// 000000005788: 7F1A02FA FF00558C
	v_mov_b32_dpp v140, v140 quad_perm:[0,0,0,0] row_mask:0xf bank_mask:0xf// 000000005790: 7F1802FA FF00008C
	v_mov_b32_dpp v147, v144 quad_perm:[3,3,3,3] row_mask:0xf bank_mask:0xf// 000000005798: 7F2602FA FF00FF90
	v_mov_b32_dpp v146, v144 quad_perm:[2,2,2,2] row_mask:0xf bank_mask:0xf// 0000000057A0: 7F2402FA FF00AA90
	v_mov_b32_dpp v145, v144 quad_perm:[1,1,1,1] row_mask:0xf bank_mask:0xf// 0000000057A8: 7F2202FA FF005590
	v_mov_b32_dpp v144, v144 quad_perm:[0,0,0,0] row_mask:0xf bank_mask:0xf// 0000000057B0: 7F2002FA FF000090
	s_waitcnt vmcnt(9)                                         // 0000000057B8: BF8C0F79
	s_barrier                                                  // 0000000057BC: BF8A0000
	s_cmp_lt_i32 s46, 2                                        // 0000000057C0: BF04822E
	s_cbranch_scc0 label_1052                                  // 0000000057C4: BF8409CE
	s_nop 0                                                    // 0000000057C8: BF800000
	s_nop 0                                                    // 0000000057CC: BF800000

00000000000057d0 <label_0674>:
	s_waitcnt lgkmcnt(4)                                       // 0000000057D0: BF8CC47F
	s_barrier                                                  // 0000000057D4: BF8A0000
	v_mfma_f32_16x16x16_bf16 v[52:55], a[96:97], a[0:1], 0     // 0000000057D8: D3E10034 1A020160
	ds_write_b32 v13, v48 offset:8704                          // 0000000057E0: D81A2200 0000300D
	ds_write_b32 v13, v49 offset:9760                          // 0000000057E8: D81A2620 0000310D
	v_mfma_f32_16x16x16_bf16 v[52:55], a[98:99], a[2:3], v[52:55]// 0000000057F0: D3E10034 1CD20562
	v_mul_f32_e32 v148, s47, v148                              // 0000000057F8: 0B29282F
	v_mul_f32_e32 v149, s47, v149                              // 0000000057FC: 0B2B2A2F
	v_mfma_f32_16x16x16_bf16 v[52:55], a[100:101], a[4:5], v[52:55]// 000000005800: D3E10034 1CD20964
	ds_write_b32 v13, v50 offset:10880                         // 000000005808: D81A2A80 0000320D
	ds_write_b32 v13, v51 offset:11936                         // 000000005810: D81A2EA0 0000330D
	v_mfma_f32_16x16x16_bf16 v[52:55], a[102:103], a[6:7], v[52:55]// 000000005818: D3E10034 1CD20D66
	v_mul_f32_e32 v150, s47, v150                              // 000000005820: 0B2D2C2F
	v_mul_f32_e32 v151, s47, v151                              // 000000005824: 0B2F2E2F
	v_mfma_f32_16x16x16_bf16 v[56:59], a[96:97], a[8:9], 0     // 000000005828: D3E10038 1A021160
	ds_write_b64 v22, v[148:149] offset:31232                  // 000000005830: D89A7A00 00009416
	v_mfma_f32_16x16x16_bf16 v[56:59], a[98:99], a[10:11], v[56:59]// 000000005838: D3E10038 1CE21562
	v_mul_f32_e32 v152, s47, v152                              // 000000005840: 0B31302F
	v_mul_f32_e32 v153, s47, v153                              // 000000005844: 0B33322F
	v_mfma_f32_16x16x16_bf16 v[56:59], a[100:101], a[12:13], v[56:59]// 000000005848: D3E10038 1CE21964
	ds_write_b64 v22, v[150:151] offset:31744                  // 000000005850: D89A7C00 00009616
	v_mfma_f32_16x16x16_bf16 v[56:59], a[102:103], a[14:15], v[56:59]// 000000005858: D3E10038 1CE21D66
	v_mul_f32_e32 v154, s47, v154                              // 000000005860: 0B35342F
	v_mul_f32_e32 v155, s47, v155                              // 000000005864: 0B37362F
	v_mfma_f32_16x16x16_bf16 v[60:63], a[96:97], a[16:17], 0   // 000000005868: D3E1003C 1A022160
	ds_write_b64 v22, v[152:153] offset:32256                  // 000000005870: D89A7E00 00009816
	v_mfma_f32_16x16x16_bf16 v[60:63], a[98:99], a[18:19], v[60:63]// 000000005878: D3E1003C 1CF22562
	buffer_atomic_add_f32 v160, v8, s[32:35], 0 idxen          // 000000005880: E1342000 8008A008
	v_mfma_f32_16x16x16_bf16 v[60:63], a[100:101], a[20:21], v[60:63]// 000000005888: D3E1003C 1CF22964
	ds_write_b64 v22, v[154:155] offset:32768                  // 000000005890: D89A8000 00009A16
	v_mfma_f32_16x16x16_bf16 v[60:63], a[102:103], a[22:23], v[60:63]// 000000005898: D3E1003C 1CF22D66
	v_mfma_f32_16x16x16_bf16 v[64:67], a[104:105], a[0:1], 0   // 0000000058A0: D3E10040 1A020168
	ds_read_b128 v[124:127], v14 offset:13056                  // 0000000058A8: D9FE3300 7C00000E
	ds_write_b32 v13, v40                                      // 0000000058B0: D81A0000 0000280D
	v_mfma_f32_16x16x16_bf16 v[64:67], a[106:107], a[2:3], v[64:67]// 0000000058B8: D3E10040 1D02056A
	buffer_atomic_add_f32 v161, v9, s[32:35], 0 idxen          // 0000000058C0: E1342000 8008A109
	v_mfma_f32_16x16x16_bf16 v[64:67], a[108:109], a[4:5], v[64:67]// 0000000058C8: D3E10040 1D02096C
	v_mfma_f32_16x16x16_bf16 v[64:67], a[110:111], a[6:7], v[64:67]// 0000000058D0: D3E10040 1D020D6E
	ds_read_b128 v[128:131], v14 offset:13568                  // 0000000058D8: D9FE3500 8000000E
	ds_write_b32 v13, v41 offset:1056                          // 0000000058E0: D81A0420 0000290D
	v_mfma_f32_16x16x16_bf16 v[68:71], a[104:105], a[8:9], 0   // 0000000058E8: D3E10044 1A021168
	buffer_atomic_add_f32 v162, v8, s[32:35], 0 idxen offset:128// 0000000058F0: E1342080 8008A208
	v_mfma_f32_16x16x16_bf16 v[68:71], a[106:107], a[10:11], v[68:71]// 0000000058F8: D3E10044 1D12156A
	v_mfma_f32_16x16x16_bf16 v[68:71], a[108:109], a[12:13], v[68:71]// 000000005900: D3E10044 1D12196C
	ds_read_b128 v[132:135], v14 offset:15232                  // 000000005908: D9FE3B80 8400000E
	ds_write_b32 v13, v42 offset:2176                          // 000000005910: D81A0880 00002A0D
	v_mfma_f32_16x16x16_bf16 v[68:71], a[110:111], a[14:15], v[68:71]// 000000005918: D3E10044 1D121D6E
	v_mfma_f32_16x16x16_bf16 v[72:75], a[104:105], a[16:17], 0 // 000000005920: D3E10048 1A022168
	buffer_atomic_add_f32 v163, v9, s[32:35], 0 idxen offset:128// 000000005928: E1342080 8008A309
	v_mfma_f32_16x16x16_bf16 v[72:75], a[106:107], a[18:19], v[72:75]// 000000005930: D3E10048 1D22256A
	ds_read_b128 v[136:139], v14 offset:15744                  // 000000005938: D9FE3D80 8800000E
	ds_write_b32 v13, v43 offset:3232                          // 000000005940: D81A0CA0 00002B0D
	v_mfma_f32_16x16x16_bf16 v[72:75], a[108:109], a[20:21], v[72:75]// 000000005948: D3E10048 1D22296C
	v_mfma_f32_16x16x16_bf16 v[72:75], a[110:111], a[22:23], v[72:75]// 000000005950: D3E10048 1D222D6E
	s_cmp_eq_i32 s82, 0                                        // 000000005958: BF008052
	s_cbranch_scc1 label_07D1                                  // 00000000595C: BF8500F0
	s_cmp_lt_i32 s74, 6                                        // 000000005960: BF04864A
	s_cbranch_scc0 label_0758                                  // 000000005964: BF84007E
	s_lshl_b32 s60, s74, 5                                     // 000000005968: 8E3C854A
	s_lshl_b32 s61, 0, 4                                       // 00000000596C: 8E3D8480
	s_add_i32 s60, s60, s61                                    // 000000005970: 813C3D3C
	v_sub_i32 v32, v236, s60                                   // 000000005974: D29D0020 000079EC
	s_mov_b32 s61, 0                                           // 00000000597C: BEBD0080
	v_add_i32 v33, v32, s61                                    // 000000005980: D29C0021 00007B20
	v_cmp_gt_i32_e64 s[60:61], v33, 0                          // 000000005988: D0C4003C 00010121
	v_cmp_gt_i32_e64 s[70:71], v33, 1                          // 000000005990: D0C40046 00010321
	v_cndmask_b32_e64 v52, v52, v178, s[60:61]                 // 000000005998: D1000034 00F36534
	v_cndmask_b32_e64 v53, v53, v178, s[70:71]                 // 0000000059A0: D1000035 011B6535
	v_cmp_gt_i32_e64 s[60:61], v33, 2                          // 0000000059A8: D0C4003C 00010521
	v_cmp_gt_i32_e64 s[70:71], v33, 3                          // 0000000059B0: D0C40046 00010721
	v_cndmask_b32_e64 v54, v54, v178, s[60:61]                 // 0000000059B8: D1000036 00F36536
	v_cndmask_b32_e64 v55, v55, v178, s[70:71]                 // 0000000059C0: D1000037 011B6537
	s_mov_b32 s61, 64                                          // 0000000059C8: BEBD00C0
	v_add_i32 v33, v32, s61                                    // 0000000059CC: D29C0021 00007B20
	v_cmp_gt_i32_e64 s[60:61], v33, 0                          // 0000000059D4: D0C4003C 00010121
	v_cmp_gt_i32_e64 s[70:71], v33, 1                          // 0000000059DC: D0C40046 00010321
	v_cndmask_b32_e64 v56, v56, v178, s[60:61]                 // 0000000059E4: D1000038 00F36538
	v_cndmask_b32_e64 v57, v57, v178, s[70:71]                 // 0000000059EC: D1000039 011B6539
	v_cmp_gt_i32_e64 s[60:61], v33, 2                          // 0000000059F4: D0C4003C 00010521
	v_cmp_gt_i32_e64 s[70:71], v33, 3                          // 0000000059FC: D0C40046 00010721
	v_cndmask_b32_e64 v58, v58, v178, s[60:61]                 // 000000005A04: D100003A 00F3653A
	v_cndmask_b32_e64 v59, v59, v178, s[70:71]                 // 000000005A0C: D100003B 011B653B
	s_mov_b32 s61, 0x80                                        // 000000005A14: BEBD00FF 00000080
	v_add_i32 v33, v32, s61                                    // 000000005A1C: D29C0021 00007B20
	v_cmp_gt_i32_e64 s[60:61], v33, 0                          // 000000005A24: D0C4003C 00010121
	v_cmp_gt_i32_e64 s[70:71], v33, 1                          // 000000005A2C: D0C40046 00010321
	v_cndmask_b32_e64 v60, v60, v178, s[60:61]                 // 000000005A34: D100003C 00F3653C
	v_cndmask_b32_e64 v61, v61, v178, s[70:71]                 // 000000005A3C: D100003D 011B653D
	v_cmp_gt_i32_e64 s[60:61], v33, 2                          // 000000005A44: D0C4003C 00010521
	v_cmp_gt_i32_e64 s[70:71], v33, 3                          // 000000005A4C: D0C40046 00010721
	v_cndmask_b32_e64 v62, v62, v178, s[60:61]                 // 000000005A54: D100003E 00F3653E
	v_cndmask_b32_e64 v63, v63, v178, s[70:71]                 // 000000005A5C: D100003F 011B653F
	s_lshl_b32 s60, s74, 5                                     // 000000005A64: 8E3C854A
	s_lshl_b32 s61, 1, 4                                       // 000000005A68: 8E3D8481
	s_add_i32 s60, s60, s61                                    // 000000005A6C: 813C3D3C
	v_sub_i32 v32, v236, s60                                   // 000000005A70: D29D0020 000079EC
	s_mov_b32 s61, 0                                           // 000000005A78: BEBD0080
	v_add_i32 v33, v32, s61                                    // 000000005A7C: D29C0021 00007B20
	v_cmp_gt_i32_e64 s[60:61], v33, 0                          // 000000005A84: D0C4003C 00010121
	v_cmp_gt_i32_e64 s[70:71], v33, 1                          // 000000005A8C: D0C40046 00010321
	v_cndmask_b32_e64 v64, v64, v178, s[60:61]                 // 000000005A94: D1000040 00F36540
	v_cndmask_b32_e64 v65, v65, v178, s[70:71]                 // 000000005A9C: D1000041 011B6541
	v_cmp_gt_i32_e64 s[60:61], v33, 2                          // 000000005AA4: D0C4003C 00010521
	v_cmp_gt_i32_e64 s[70:71], v33, 3                          // 000000005AAC: D0C40046 00010721
	v_cndmask_b32_e64 v66, v66, v178, s[60:61]                 // 000000005AB4: D1000042 00F36542
	v_cndmask_b32_e64 v67, v67, v178, s[70:71]                 // 000000005ABC: D1000043 011B6543
	s_mov_b32 s61, 64                                          // 000000005AC4: BEBD00C0
	v_add_i32 v33, v32, s61                                    // 000000005AC8: D29C0021 00007B20
	v_cmp_gt_i32_e64 s[60:61], v33, 0                          // 000000005AD0: D0C4003C 00010121
	v_cmp_gt_i32_e64 s[70:71], v33, 1                          // 000000005AD8: D0C40046 00010321
	v_cndmask_b32_e64 v68, v68, v178, s[60:61]                 // 000000005AE0: D1000044 00F36544
	v_cndmask_b32_e64 v69, v69, v178, s[70:71]                 // 000000005AE8: D1000045 011B6545
	v_cmp_gt_i32_e64 s[60:61], v33, 2                          // 000000005AF0: D0C4003C 00010521
	v_cmp_gt_i32_e64 s[70:71], v33, 3                          // 000000005AF8: D0C40046 00010721
	v_cndmask_b32_e64 v70, v70, v178, s[60:61]                 // 000000005B00: D1000046 00F36546
	v_cndmask_b32_e64 v71, v71, v178, s[70:71]                 // 000000005B08: D1000047 011B6547
	s_mov_b32 s61, 0x80                                        // 000000005B10: BEBD00FF 00000080
	v_add_i32 v33, v32, s61                                    // 000000005B18: D29C0021 00007B20
	v_cmp_gt_i32_e64 s[60:61], v33, 0                          // 000000005B20: D0C4003C 00010121
	v_cmp_gt_i32_e64 s[70:71], v33, 1                          // 000000005B28: D0C40046 00010321
	v_cndmask_b32_e64 v72, v72, v178, s[60:61]                 // 000000005B30: D1000048 00F36548
	v_cndmask_b32_e64 v73, v73, v178, s[70:71]                 // 000000005B38: D1000049 011B6549
	v_cmp_gt_i32_e64 s[60:61], v33, 2                          // 000000005B40: D0C4003C 00010521
	v_cmp_gt_i32_e64 s[70:71], v33, 3                          // 000000005B48: D0C40046 00010721
	v_cndmask_b32_e64 v74, v74, v178, s[60:61]                 // 000000005B50: D100004A 00F3654A
	v_cndmask_b32_e64 v75, v75, v178, s[70:71]                 // 000000005B58: D100004B 011B654B

0000000000005b60 <label_0758>:
	s_cmp_lt_i32 s84, 0xc0                                     // 000000005B60: BF04FF54 000000C0
	s_cbranch_scc0 label_07D1                                  // 000000005B68: BF84006D
	s_cmp_le_i32 s84, 64                                       // 000000005B6C: BF05C054
	s_cbranch_scc1 label_0764                                  // 000000005B70: BF850007
	s_cmp_le_i32 s84, 0x80                                     // 000000005B74: BF05FF54 00000080
	s_cbranch_scc1 label_0788                                  // 000000005B7C: BF85001F
	s_cmp_lt_i32 s84, 0xc0                                     // 000000005B80: BF04FF54 000000C0
	s_cbranch_scc1 label_07AC                                  // 000000005B88: BF850040
	s_branch label_07D1                                        // 000000005B8C: BF820064

0000000000005b90 <label_0764>:
	s_mov_b32 s60, 0                                           // 000000005B90: BEBC0080
	v_and_b32_e32 v32, 15, v0                                  // 000000005B94: 2640008F
	v_add_u32_e64 v32, v32, s60                                // 000000005B98: D1340020 00007920
	v_mul_i32_i24_e64 v33, s46, 16                             // 000000005BA0: D1060021 0001202E
	v_add_u32_e32 v32, v32, v33                                // 000000005BA8: 68404320
	v_cmp_lt_u32_e64 s[60:61], v32, s84                        // 000000005BAC: D0C9003C 0000A920
	s_nop 1                                                    // 000000005BB4: BF800001
	v_cndmask_b32_e64 v52, v178, v52, s[60:61]                 // 000000005BB8: D1000034 00F269B2
	v_cndmask_b32_e64 v64, v178, v64, s[60:61]                 // 000000005BC0: D1000040 00F281B2
	v_cndmask_b32_e64 v53, v178, v53, s[60:61]                 // 000000005BC8: D1000035 00F26BB2
	v_cndmask_b32_e64 v65, v178, v65, s[60:61]                 // 000000005BD0: D1000041 00F283B2
	v_cndmask_b32_e64 v54, v178, v54, s[60:61]                 // 000000005BD8: D1000036 00F26DB2
	v_cndmask_b32_e64 v66, v178, v66, s[60:61]                 // 000000005BE0: D1000042 00F285B2
	v_cndmask_b32_e64 v55, v178, v55, s[60:61]                 // 000000005BE8: D1000037 00F26FB2
	v_cndmask_b32_e64 v67, v178, v67, s[60:61]                 // 000000005BF0: D1000043 00F287B2
	s_branch label_07A3                                        // 000000005BF8: BF82001B

0000000000005bfc <label_0788>:
	s_mov_b32 s60, 64                                          // 000000005BFC: BEBC00C0
	v_and_b32_e32 v32, 15, v0                                  // 000000005C00: 2640008F
	v_add_u32_e64 v32, v32, s60                                // 000000005C04: D1340020 00007920
	v_mul_i32_i24_e64 v33, s46, 16                             // 000000005C0C: D1060021 0001202E
	v_add_u32_e32 v32, v32, v33                                // 000000005C14: 68404320
	v_cmp_lt_u32_e64 s[60:61], v32, s84                        // 000000005C18: D0C9003C 0000A920
	s_nop 1                                                    // 000000005C20: BF800001
	v_cndmask_b32_e64 v56, v178, v56, s[60:61]                 // 000000005C24: D1000038 00F271B2
	v_cndmask_b32_e64 v68, v178, v68, s[60:61]                 // 000000005C2C: D1000044 00F289B2
	v_cndmask_b32_e64 v57, v178, v57, s[60:61]                 // 000000005C34: D1000039 00F273B2
	v_cndmask_b32_e64 v69, v178, v69, s[60:61]                 // 000000005C3C: D1000045 00F28BB2
	v_cndmask_b32_e64 v58, v178, v58, s[60:61]                 // 000000005C44: D100003A 00F275B2
	v_cndmask_b32_e64 v70, v178, v70, s[60:61]                 // 000000005C4C: D1000046 00F28DB2
	v_cndmask_b32_e64 v59, v178, v59, s[60:61]                 // 000000005C54: D100003B 00F277B2
	v_cndmask_b32_e64 v71, v178, v71, s[60:61]                 // 000000005C5C: D1000047 00F28FB2
	s_branch label_07C8                                        // 000000005C64: BF820025

0000000000005c68 <label_07A3>:
	v_mov_b32_e32 v56, v178                                    // 000000005C68: 7E7003B2
	v_mov_b32_e32 v68, v178                                    // 000000005C6C: 7E8803B2
	v_mov_b32_e32 v57, v178                                    // 000000005C70: 7E7203B2
	v_mov_b32_e32 v69, v178                                    // 000000005C74: 7E8A03B2
	v_mov_b32_e32 v58, v178                                    // 000000005C78: 7E7403B2
	v_mov_b32_e32 v70, v178                                    // 000000005C7C: 7E8C03B2
	v_mov_b32_e32 v59, v178                                    // 000000005C80: 7E7603B2
	v_mov_b32_e32 v71, v178                                    // 000000005C84: 7E8E03B2
	s_branch label_07C8                                        // 000000005C88: BF82001C

0000000000005c8c <label_07AC>:
	s_mov_b32 s60, 0x80                                        // 000000005C8C: BEBC00FF 00000080
	v_and_b32_e32 v32, 15, v0                                  // 000000005C94: 2640008F
	v_add_u32_e64 v32, v32, s60                                // 000000005C98: D1340020 00007920
	v_mul_i32_i24_e64 v33, s46, 16                             // 000000005CA0: D1060021 0001202E
	v_add_u32_e32 v32, v32, v33                                // 000000005CA8: 68404320
	v_cmp_lt_u32_e64 s[60:61], v32, s84                        // 000000005CAC: D0C9003C 0000A920
	s_nop 1                                                    // 000000005CB4: BF800001
	v_cndmask_b32_e64 v60, v178, v60, s[60:61]                 // 000000005CB8: D100003C 00F279B2
	v_cndmask_b32_e64 v72, v178, v72, s[60:61]                 // 000000005CC0: D1000048 00F291B2
	v_cndmask_b32_e64 v61, v178, v61, s[60:61]                 // 000000005CC8: D100003D 00F27BB2
	v_cndmask_b32_e64 v73, v178, v73, s[60:61]                 // 000000005CD0: D1000049 00F293B2
	v_cndmask_b32_e64 v62, v178, v62, s[60:61]                 // 000000005CD8: D100003E 00F27DB2
	v_cndmask_b32_e64 v74, v178, v74, s[60:61]                 // 000000005CE0: D100004A 00F295B2
	v_cndmask_b32_e64 v63, v178, v63, s[60:61]                 // 000000005CE8: D100003F 00F27FB2
	v_cndmask_b32_e64 v75, v178, v75, s[60:61]                 // 000000005CF0: D100004B 00F297B2
	s_branch label_07D1                                        // 000000005CF8: BF820009

0000000000005cfc <label_07C8>:
	v_mov_b32_e32 v60, v178                                    // 000000005CFC: 7E7803B2
	v_mov_b32_e32 v72, v178                                    // 000000005D00: 7E9003B2
	v_mov_b32_e32 v61, v178                                    // 000000005D04: 7E7A03B2
	v_mov_b32_e32 v73, v178                                    // 000000005D08: 7E9203B2
	v_mov_b32_e32 v62, v178                                    // 000000005D0C: 7E7C03B2
	v_mov_b32_e32 v74, v178                                    // 000000005D10: 7E9403B2
	v_mov_b32_e32 v63, v178                                    // 000000005D14: 7E7E03B2
	v_mov_b32_e32 v75, v178                                    // 000000005D18: 7E9603B2
	s_branch label_07D1                                        // 000000005D1C: BF820000

0000000000005d20 <label_07D1>:
	s_addk_i32 s74, 0x1                                        // 000000005D20: B74A0001
	s_waitcnt lgkmcnt(8)                                       // 000000005D24: BF8CC87F
	s_barrier                                                  // 000000005D28: BF8A0000
	v_mfma_f32_16x16x16_bf16 v[76:79], v[108:109], a[72:73], 0 // 000000005D2C: D3E1004C 1202916C
	ds_read_b128 a[96:99], v14 offset:4352                     // 000000005D34: DBFE1100 6000000E
	ds_read_b128 a[100:103], v14 offset:4864                   // 000000005D3C: DBFE1300 6400000E
	v_mfma_f32_16x16x16_bf16 v[76:79], v[110:111], a[74:75], v[76:79]// 000000005D44: D3E1004C 1532956E
	v_fma_f32 v52, v52, s57, -v140                             // 000000005D4C: D1CB0034 86307334
	v_fma_f32 v53, v53, s57, -v141                             // 000000005D54: D1CB0035 86347335
	v_fma_f32 v54, v54, s57, -v142                             // 000000005D5C: D1CB0036 86387336
	v_fma_f32 v55, v55, s57, -v143                             // 000000005D64: D1CB0037 863C7337
	v_fma_f32 v56, v56, s57, -v140                             // 000000005D6C: D1CB0038 86307338
	v_fma_f32 v57, v57, s57, -v141                             // 000000005D74: D1CB0039 86347339
	v_mfma_f32_16x16x16_bf16 v[76:79], v[112:113], a[76:77], v[76:79]// 000000005D7C: D3E1004C 15329970
	v_fma_f32 v58, v58, s57, -v142                             // 000000005D84: D1CB003A 8638733A
	v_fma_f32 v59, v59, s57, -v143                             // 000000005D8C: D1CB003B 863C733B
	v_fma_f32 v60, v60, s57, -v140                             // 000000005D94: D1CB003C 8630733C
	v_fma_f32 v61, v61, s57, -v141                             // 000000005D9C: D1CB003D 8634733D
	v_fma_f32 v62, v62, s57, -v142                             // 000000005DA4: D1CB003E 8638733E
	v_fma_f32 v63, v63, s57, -v143                             // 000000005DAC: D1CB003F 863C733F
	v_mfma_f32_16x16x16_bf16 v[76:79], v[114:115], a[78:79], v[76:79]// 000000005DB4: D3E1004C 15329D72
	v_fma_f32 v64, v64, s57, -v144                             // 000000005DBC: D1CB0040 86407340
	v_fma_f32 v65, v65, s57, -v145                             // 000000005DC4: D1CB0041 86447341
	v_fma_f32 v66, v66, s57, -v146                             // 000000005DCC: D1CB0042 86487342
	v_fma_f32 v67, v67, s57, -v147                             // 000000005DD4: D1CB0043 864C7343
	v_fma_f32 v68, v68, s57, -v144                             // 000000005DDC: D1CB0044 86407344
	v_fma_f32 v69, v69, s57, -v145                             // 000000005DE4: D1CB0045 86447345
	v_mfma_f32_16x16x16_bf16 v[80:83], v[108:109], a[80:81], 0 // 000000005DEC: D3E10050 1202A16C
	ds_read_b128 a[104:107], v14 offset:6528                   // 000000005DF4: DBFE1980 6800000E
	ds_read_b128 a[108:111], v14 offset:7040                   // 000000005DFC: DBFE1B80 6C00000E
	v_mfma_f32_16x16x16_bf16 v[80:83], v[110:111], a[82:83], v[80:83]// 000000005E04: D3E10050 1542A56E
	v_fma_f32 v70, v70, s57, -v146                             // 000000005E0C: D1CB0046 86487346
	v_fma_f32 v71, v71, s57, -v147                             // 000000005E14: D1CB0047 864C7347
	v_fma_f32 v72, v72, s57, -v144                             // 000000005E1C: D1CB0048 86407348
	v_fma_f32 v73, v73, s57, -v145                             // 000000005E24: D1CB0049 86447349
	v_fma_f32 v74, v74, s57, -v146                             // 000000005E2C: D1CB004A 8648734A
	v_fma_f32 v75, v75, s57, -v147                             // 000000005E34: D1CB004B 864C734B
	v_mfma_f32_16x16x16_bf16 v[80:83], v[112:113], a[84:85], v[80:83]// 000000005E3C: D3E10050 1542A970
	v_exp_f32_e32 v52, v52                                     // 000000005E44: 7E684134
	v_exp_f32_e32 v53, v53                                     // 000000005E48: 7E6A4135
	v_mfma_f32_16x16x16_bf16 v[80:83], v[114:115], a[86:87], v[80:83]// 000000005E4C: D3E10050 1542AD72
	v_exp_f32_e32 v54, v54                                     // 000000005E54: 7E6C4136
	v_exp_f32_e32 v55, v55                                     // 000000005E58: 7E6E4137
	v_mfma_f32_16x16x16_bf16 v[84:87], v[108:109], a[88:89], 0 // 000000005E5C: D3E10054 1202B16C
	ds_read_b64 v[156:157], v21 offset:31232                   // 000000005E64: D8EC7A00 9C000015
	ds_read_b64 v[158:159], v21 offset:33280                   // 000000005E6C: D8EC8200 9E000015
	v_mfma_f32_16x16x16_bf16 v[84:87], v[110:111], a[90:91], v[84:87]// 000000005E74: D3E10054 1552B56E
	v_exp_f32_e32 v56, v56                                     // 000000005E7C: 7E704138
	v_exp_f32_e32 v57, v57                                     // 000000005E80: 7E724139
	v_mfma_f32_16x16x16_bf16 v[84:87], v[112:113], a[92:93], v[84:87]// 000000005E84: D3E10054 1552B970
	ds_read_b64 v[160:161], v21 offset:35328                   // 000000005E8C: D8EC8A00 A0000015
	ds_read_b64 v[162:163], v21 offset:37376                   // 000000005E94: D8EC9200 A2000015
	v_mfma_f32_16x16x16_bf16 v[84:87], v[114:115], a[94:95], v[84:87]// 000000005E9C: D3E10054 1552BD72
	v_exp_f32_e32 v58, v58                                     // 000000005EA4: 7E74413A
	v_exp_f32_e32 v59, v59                                     // 000000005EA8: 7E76413B
	v_mfma_f32_16x16x16_bf16 v[88:91], v[116:117], a[72:73], 0 // 000000005EAC: D3E10058 12029174
	v_exp_f32_e32 v60, v60                                     // 000000005EB4: 7E78413C
	v_exp_f32_e32 v61, v61                                     // 000000005EB8: 7E7A413D
	v_mfma_f32_16x16x16_bf16 v[88:91], v[118:119], a[74:75], v[88:91]// 000000005EBC: D3E10058 15629576
	v_exp_f32_e32 v62, v62                                     // 000000005EC4: 7E7C413E
	v_exp_f32_e32 v63, v63                                     // 000000005EC8: 7E7E413F
	v_mfma_f32_16x16x16_bf16 v[88:91], v[120:121], a[76:77], v[88:91]// 000000005ECC: D3E10058 15629978
	v_exp_f32_e32 v64, v64                                     // 000000005ED4: 7E804140
	v_exp_f32_e32 v65, v65                                     // 000000005ED8: 7E824141
	v_mfma_f32_16x16x16_bf16 v[88:91], v[122:123], a[78:79], v[88:91]// 000000005EDC: D3E10058 15629D7A
	v_exp_f32_e32 v66, v66                                     // 000000005EE4: 7E844142
	v_exp_f32_e32 v67, v67                                     // 000000005EE8: 7E864143
	v_mfma_f32_16x16x16_bf16 v[92:95], v[116:117], a[80:81], 0 // 000000005EEC: D3E1005C 1202A174
	v_exp_f32_e32 v68, v68                                     // 000000005EF4: 7E884144
	v_exp_f32_e32 v69, v69                                     // 000000005EF8: 7E8A4145
	v_mfma_f32_16x16x16_bf16 v[92:95], v[118:119], a[82:83], v[92:95]// 000000005EFC: D3E1005C 1572A576
	v_exp_f32_e32 v70, v70                                     // 000000005F04: 7E8C4146
	v_exp_f32_e32 v71, v71                                     // 000000005F08: 7E8E4147
	v_mfma_f32_16x16x16_bf16 v[92:95], v[120:121], a[84:85], v[92:95]// 000000005F0C: D3E1005C 1572A978
	v_exp_f32_e32 v72, v72                                     // 000000005F14: 7E904148
	v_exp_f32_e32 v73, v73                                     // 000000005F18: 7E924149
	v_mfma_f32_16x16x16_bf16 v[92:95], v[122:123], a[86:87], v[92:95]// 000000005F1C: D3E1005C 1572AD7A
	v_exp_f32_e32 v74, v74                                     // 000000005F24: 7E94414A
	v_exp_f32_e32 v75, v75                                     // 000000005F28: 7E96414B
	v_mfma_f32_16x16x16_bf16 v[96:99], v[116:117], a[88:89], 0 // 000000005F2C: D3E10060 1202B174
	v_cmp_u_f32_e64 s[78:79], v52, v52                         // 000000005F34: D048004E 00026934
	v_add3_u32 v228, v52, v231, 1                              // 000000005F3C: D1FF00E4 0207CF34
	v_cndmask_b32_e64 v32, v228, v230, s[78:79]                // 000000005F44: D1000020 013BCDE4
	v_cmp_u_f32_e64 s[78:79], v53, v53                         // 000000005F4C: D048004E 00026B35
	v_add3_u32 v228, v53, v231, 1                              // 000000005F54: D1FF00E4 0207CF35
	v_cndmask_b32_e64 v33, v228, v230, s[78:79]                // 000000005F5C: D1000021 013BCDE4
	v_perm_b32 v164, v33, v32, s64                             // 000000005F64: D1ED00A4 01024121
	v_cmp_u_f32_e64 s[78:79], v54, v54                         // 000000005F6C: D048004E 00026D36
	v_add3_u32 v228, v54, v231, 1                              // 000000005F74: D1FF00E4 0207CF36
	v_cndmask_b32_e64 v32, v228, v230, s[78:79]                // 000000005F7C: D1000020 013BCDE4
	v_cmp_u_f32_e64 s[78:79], v55, v55                         // 000000005F84: D048004E 00026F37
	v_add3_u32 v228, v55, v231, 1                              // 000000005F8C: D1FF00E4 0207CF37
	v_cndmask_b32_e64 v33, v228, v230, s[78:79]                // 000000005F94: D1000021 013BCDE4
	v_perm_b32 v165, v33, v32, s64                             // 000000005F9C: D1ED00A5 01024121
	v_cmp_u_f32_e64 s[78:79], v56, v56                         // 000000005FA4: D048004E 00027138
	v_add3_u32 v228, v56, v231, 1                              // 000000005FAC: D1FF00E4 0207CF38
	v_cndmask_b32_e64 v32, v228, v230, s[78:79]                // 000000005FB4: D1000020 013BCDE4
	v_cmp_u_f32_e64 s[78:79], v57, v57                         // 000000005FBC: D048004E 00027339
	v_add3_u32 v228, v57, v231, 1                              // 000000005FC4: D1FF00E4 0207CF39
	v_cndmask_b32_e64 v33, v228, v230, s[78:79]                // 000000005FCC: D1000021 013BCDE4
	v_perm_b32 v166, v33, v32, s64                             // 000000005FD4: D1ED00A6 01024121
	v_cmp_u_f32_e64 s[78:79], v58, v58                         // 000000005FDC: D048004E 0002753A
	v_add3_u32 v228, v58, v231, 1                              // 000000005FE4: D1FF00E4 0207CF3A
	v_cndmask_b32_e64 v32, v228, v230, s[78:79]                // 000000005FEC: D1000020 013BCDE4
	v_cmp_u_f32_e64 s[78:79], v59, v59                         // 000000005FF4: D048004E 0002773B
	v_add3_u32 v228, v59, v231, 1                              // 000000005FFC: D1FF00E4 0207CF3B
	v_cndmask_b32_e64 v33, v228, v230, s[78:79]                // 000000006004: D1000021 013BCDE4
	v_perm_b32 v167, v33, v32, s64                             // 00000000600C: D1ED00A7 01024121
	v_cmp_u_f32_e64 s[78:79], v60, v60                         // 000000006014: D048004E 0002793C
	v_add3_u32 v228, v60, v231, 1                              // 00000000601C: D1FF00E4 0207CF3C
	v_cndmask_b32_e64 v32, v228, v230, s[78:79]                // 000000006024: D1000020 013BCDE4
	v_cmp_u_f32_e64 s[78:79], v61, v61                         // 00000000602C: D048004E 00027B3D
	v_add3_u32 v228, v61, v231, 1                              // 000000006034: D1FF00E4 0207CF3D
	v_cndmask_b32_e64 v33, v228, v230, s[78:79]                // 00000000603C: D1000021 013BCDE4
	v_perm_b32 v168, v33, v32, s64                             // 000000006044: D1ED00A8 01024121
	v_cmp_u_f32_e64 s[78:79], v62, v62                         // 00000000604C: D048004E 00027D3E
	v_add3_u32 v228, v62, v231, 1                              // 000000006054: D1FF00E4 0207CF3E
	v_cndmask_b32_e64 v32, v228, v230, s[78:79]                // 00000000605C: D1000020 013BCDE4
	v_cmp_u_f32_e64 s[78:79], v63, v63                         // 000000006064: D048004E 00027F3F
	v_add3_u32 v228, v63, v231, 1                              // 00000000606C: D1FF00E4 0207CF3F
	v_cndmask_b32_e64 v33, v228, v230, s[78:79]                // 000000006074: D1000021 013BCDE4
	v_perm_b32 v169, v33, v32, s64                             // 00000000607C: D1ED00A9 01024121
	v_mfma_f32_16x16x16_bf16 v[96:99], v[118:119], a[90:91], v[96:99]// 000000006084: D3E10060 1582B576
	v_cmp_u_f32_e64 s[78:79], v64, v64                         // 00000000608C: D048004E 00028140
	v_add3_u32 v228, v64, v231, 1                              // 000000006094: D1FF00E4 0207CF40
	v_cndmask_b32_e64 v32, v228, v230, s[78:79]                // 00000000609C: D1000020 013BCDE4
	v_cmp_u_f32_e64 s[78:79], v65, v65                         // 0000000060A4: D048004E 00028341
	v_add3_u32 v228, v65, v231, 1                              // 0000000060AC: D1FF00E4 0207CF41
	v_cndmask_b32_e64 v33, v228, v230, s[78:79]                // 0000000060B4: D1000021 013BCDE4
	v_perm_b32 v170, v33, v32, s64                             // 0000000060BC: D1ED00AA 01024121
	v_cmp_u_f32_e64 s[78:79], v66, v66                         // 0000000060C4: D048004E 00028542
	v_add3_u32 v228, v66, v231, 1                              // 0000000060CC: D1FF00E4 0207CF42
	v_cndmask_b32_e64 v32, v228, v230, s[78:79]                // 0000000060D4: D1000020 013BCDE4
	v_cmp_u_f32_e64 s[78:79], v67, v67                         // 0000000060DC: D048004E 00028743
	v_add3_u32 v228, v67, v231, 1                              // 0000000060E4: D1FF00E4 0207CF43
	v_cndmask_b32_e64 v33, v228, v230, s[78:79]                // 0000000060EC: D1000021 013BCDE4
	v_perm_b32 v171, v33, v32, s64                             // 0000000060F4: D1ED00AB 01024121
	v_cmp_u_f32_e64 s[78:79], v68, v68                         // 0000000060FC: D048004E 00028944
	v_add3_u32 v228, v68, v231, 1                              // 000000006104: D1FF00E4 0207CF44
	v_cndmask_b32_e64 v32, v228, v230, s[78:79]                // 00000000610C: D1000020 013BCDE4
	v_cmp_u_f32_e64 s[78:79], v69, v69                         // 000000006114: D048004E 00028B45
	v_add3_u32 v228, v69, v231, 1                              // 00000000611C: D1FF00E4 0207CF45
	v_cndmask_b32_e64 v33, v228, v230, s[78:79]                // 000000006124: D1000021 013BCDE4
	v_perm_b32 v172, v33, v32, s64                             // 00000000612C: D1ED00AC 01024121
	v_cmp_u_f32_e64 s[78:79], v70, v70                         // 000000006134: D048004E 00028D46
	v_add3_u32 v228, v70, v231, 1                              // 00000000613C: D1FF00E4 0207CF46
	v_cndmask_b32_e64 v32, v228, v230, s[78:79]                // 000000006144: D1000020 013BCDE4
	v_cmp_u_f32_e64 s[78:79], v71, v71                         // 00000000614C: D048004E 00028F47
	v_add3_u32 v228, v71, v231, 1                              // 000000006154: D1FF00E4 0207CF47
	v_cndmask_b32_e64 v33, v228, v230, s[78:79]                // 00000000615C: D1000021 013BCDE4
	v_perm_b32 v173, v33, v32, s64                             // 000000006164: D1ED00AD 01024121
	v_cmp_u_f32_e64 s[78:79], v72, v72                         // 00000000616C: D048004E 00029148
	v_add3_u32 v228, v72, v231, 1                              // 000000006174: D1FF00E4 0207CF48
	v_cndmask_b32_e64 v32, v228, v230, s[78:79]                // 00000000617C: D1000020 013BCDE4
	v_cmp_u_f32_e64 s[78:79], v73, v73                         // 000000006184: D048004E 00029349
	v_add3_u32 v228, v73, v231, 1                              // 00000000618C: D1FF00E4 0207CF49
	v_cndmask_b32_e64 v33, v228, v230, s[78:79]                // 000000006194: D1000021 013BCDE4
	v_perm_b32 v174, v33, v32, s64                             // 00000000619C: D1ED00AE 01024121
	v_cmp_u_f32_e64 s[78:79], v74, v74                         // 0000000061A4: D048004E 0002954A
	v_add3_u32 v228, v74, v231, 1                              // 0000000061AC: D1FF00E4 0207CF4A
	v_cndmask_b32_e64 v32, v228, v230, s[78:79]                // 0000000061B4: D1000020 013BCDE4
	v_cmp_u_f32_e64 s[78:79], v75, v75                         // 0000000061BC: D048004E 0002974B
	v_add3_u32 v228, v75, v231, 1                              // 0000000061C4: D1FF00E4 0207CF4B
	v_cndmask_b32_e64 v33, v228, v230, s[78:79]                // 0000000061CC: D1000021 013BCDE4
	v_perm_b32 v175, v33, v32, s64                             // 0000000061D4: D1ED00AF 01024121
	v_mfma_f32_16x16x16_bf16 v[96:99], v[120:121], a[92:93], v[96:99]// 0000000061DC: D3E10060 1582B978
	v_add_u32_e32 v6, s66, v6                                  // 0000000061E4: 680C0C42
	v_add_u32_e32 v7, s66, v7                                  // 0000000061E8: 680E0E42
	v_add_u32_e32 v8, s66, v8                                  // 0000000061EC: 68101042
	v_add_u32_e32 v9, s66, v9                                  // 0000000061F0: 68121242
	v_mfma_f32_16x16x16_bf16 v[96:99], v[122:123], a[94:95], v[96:99]// 0000000061F4: D3E10060 1582BD7A
	s_waitcnt lgkmcnt(0)                                       // 0000000061FC: BF8CC07F
	s_barrier                                                  // 000000006200: BF8A0000
	v_mfma_f32_16x16x16_bf16 v[180:183], v[124:125], v[164:165], v[180:183]// 000000006204: D3E100B4 06D3497C
	v_subrev_f32_dpp v76, v176, v76 quad_perm:[0,0,0,0] row_mask:0xf bank_mask:0xf// 00000000620C: 069898FA FF0000B0
	v_subrev_f32_dpp v77, v176, v77 quad_perm:[1,1,1,1] row_mask:0xf bank_mask:0xf// 000000006214: 069A9AFA FF0055B0
	v_subrev_f32_dpp v78, v176, v78 quad_perm:[2,2,2,2] row_mask:0xf bank_mask:0xf// 00000000621C: 069C9CFA FF00AAB0
	v_subrev_f32_dpp v79, v176, v79 quad_perm:[3,3,3,3] row_mask:0xf bank_mask:0xf// 000000006224: 069E9EFA FF00FFB0
	v_subrev_f32_dpp v80, v176, v80 quad_perm:[0,0,0,0] row_mask:0xf bank_mask:0xf// 00000000622C: 06A0A0FA FF0000B0
	v_subrev_f32_dpp v81, v176, v81 quad_perm:[1,1,1,1] row_mask:0xf bank_mask:0xf// 000000006234: 06A2A2FA FF0055B0
	v_mfma_f32_16x16x16_bf16 v[184:187], v[126:127], v[164:165], v[184:187]// 00000000623C: D3E100B8 06E3497E
	v_subrev_f32_dpp v82, v176, v82 quad_perm:[2,2,2,2] row_mask:0xf bank_mask:0xf// 000000006244: 06A4A4FA FF00AAB0
	v_subrev_f32_dpp v83, v176, v83 quad_perm:[3,3,3,3] row_mask:0xf bank_mask:0xf// 00000000624C: 06A6A6FA FF00FFB0
	v_subrev_f32_dpp v84, v176, v84 quad_perm:[0,0,0,0] row_mask:0xf bank_mask:0xf// 000000006254: 06A8A8FA FF0000B0
	v_subrev_f32_dpp v85, v176, v85 quad_perm:[1,1,1,1] row_mask:0xf bank_mask:0xf// 00000000625C: 06AAAAFA FF0055B0
	v_subrev_f32_dpp v86, v176, v86 quad_perm:[2,2,2,2] row_mask:0xf bank_mask:0xf// 000000006264: 06ACACFA FF00AAB0
	v_subrev_f32_dpp v87, v176, v87 quad_perm:[3,3,3,3] row_mask:0xf bank_mask:0xf// 00000000626C: 06AEAEFA FF00FFB0
	v_mfma_f32_16x16x16_bf16 v[188:191], v[128:129], v[164:165], v[188:191]// 000000006274: D3E100BC 06F34980
	v_mul_f32_e32 v76, v52, v76                                // 00000000627C: 0A989934
	v_mul_f32_e32 v77, v53, v77                                // 000000006280: 0A9A9B35
	v_mul_f32_e32 v78, v54, v78                                // 000000006284: 0A9C9D36
	v_mul_f32_e32 v79, v55, v79                                // 000000006288: 0A9E9F37
	v_mul_f32_e32 v80, v56, v80                                // 00000000628C: 0AA0A138
	v_mul_f32_e32 v81, v57, v81                                // 000000006290: 0AA2A339
	v_mfma_f32_16x16x16_bf16 v[192:195], v[130:131], v[164:165], v[192:195]// 000000006294: D3E100C0 07034982
	v_mul_f32_e32 v82, v58, v82                                // 00000000629C: 0AA4A53A
	v_mul_f32_e32 v83, v59, v83                                // 0000000062A0: 0AA6A73B
	v_mul_f32_e32 v84, v60, v84                                // 0000000062A4: 0AA8A93C
	v_mul_f32_e32 v85, v61, v85                                // 0000000062A8: 0AAAAB3D
	v_mul_f32_e32 v86, v62, v86                                // 0000000062AC: 0AACAD3E
	v_mul_f32_e32 v87, v63, v87                                // 0000000062B0: 0AAEAF3F
	v_mfma_f32_16x16x16_bf16 v[196:199], v[124:125], v[166:167], v[196:199]// 0000000062B4: D3E100C4 07134D7C
	v_cmp_u_f32_e64 s[78:79], v76, v76                         // 0000000062BC: D048004E 0002994C
	v_add3_u32 v228, v76, v231, 1                              // 0000000062C4: D1FF00E4 0207CF4C
	v_cndmask_b32_e64 v32, v228, v230, s[78:79]                // 0000000062CC: D1000020 013BCDE4
	v_cmp_u_f32_e64 s[78:79], v77, v77                         // 0000000062D4: D048004E 00029B4D
	v_add3_u32 v228, v77, v231, 1                              // 0000000062DC: D1FF00E4 0207CF4D
	v_cndmask_b32_e64 v33, v228, v230, s[78:79]                // 0000000062E4: D1000021 013BCDE4
	v_perm_b32 v76, v33, v32, s64                              // 0000000062EC: D1ED004C 01024121
	v_cmp_u_f32_e64 s[78:79], v78, v78                         // 0000000062F4: D048004E 00029D4E
	v_add3_u32 v228, v78, v231, 1                              // 0000000062FC: D1FF00E4 0207CF4E
	v_cndmask_b32_e64 v32, v228, v230, s[78:79]                // 000000006304: D1000020 013BCDE4
	v_cmp_u_f32_e64 s[78:79], v79, v79                         // 00000000630C: D048004E 00029F4F
	v_add3_u32 v228, v79, v231, 1                              // 000000006314: D1FF00E4 0207CF4F
	v_cndmask_b32_e64 v33, v228, v230, s[78:79]                // 00000000631C: D1000021 013BCDE4
	v_perm_b32 v77, v33, v32, s64                              // 000000006324: D1ED004D 01024121
	v_cmp_u_f32_e64 s[78:79], v80, v80                         // 00000000632C: D048004E 0002A150
	v_add3_u32 v228, v80, v231, 1                              // 000000006334: D1FF00E4 0207CF50
	v_cndmask_b32_e64 v32, v228, v230, s[78:79]                // 00000000633C: D1000020 013BCDE4
	v_cmp_u_f32_e64 s[78:79], v81, v81                         // 000000006344: D048004E 0002A351
	v_add3_u32 v228, v81, v231, 1                              // 00000000634C: D1FF00E4 0207CF51
	v_cndmask_b32_e64 v33, v228, v230, s[78:79]                // 000000006354: D1000021 013BCDE4
	v_perm_b32 v78, v33, v32, s64                              // 00000000635C: D1ED004E 01024121
	v_cmp_u_f32_e64 s[78:79], v82, v82                         // 000000006364: D048004E 0002A552
	v_add3_u32 v228, v82, v231, 1                              // 00000000636C: D1FF00E4 0207CF52
	v_cndmask_b32_e64 v32, v228, v230, s[78:79]                // 000000006374: D1000020 013BCDE4
	v_cmp_u_f32_e64 s[78:79], v83, v83                         // 00000000637C: D048004E 0002A753
	v_add3_u32 v228, v83, v231, 1                              // 000000006384: D1FF00E4 0207CF53
	v_cndmask_b32_e64 v33, v228, v230, s[78:79]                // 00000000638C: D1000021 013BCDE4
	v_perm_b32 v79, v33, v32, s64                              // 000000006394: D1ED004F 01024121
	v_cmp_u_f32_e64 s[78:79], v84, v84                         // 00000000639C: D048004E 0002A954
	v_add3_u32 v228, v84, v231, 1                              // 0000000063A4: D1FF00E4 0207CF54
	v_cndmask_b32_e64 v32, v228, v230, s[78:79]                // 0000000063AC: D1000020 013BCDE4
	v_cmp_u_f32_e64 s[78:79], v85, v85                         // 0000000063B4: D048004E 0002AB55
	v_add3_u32 v228, v85, v231, 1                              // 0000000063BC: D1FF00E4 0207CF55
	v_cndmask_b32_e64 v33, v228, v230, s[78:79]                // 0000000063C4: D1000021 013BCDE4
	v_perm_b32 v80, v33, v32, s64                              // 0000000063CC: D1ED0050 01024121
	v_cmp_u_f32_e64 s[78:79], v86, v86                         // 0000000063D4: D048004E 0002AD56
	v_add3_u32 v228, v86, v231, 1                              // 0000000063DC: D1FF00E4 0207CF56
	v_cndmask_b32_e64 v32, v228, v230, s[78:79]                // 0000000063E4: D1000020 013BCDE4
	v_cmp_u_f32_e64 s[78:79], v87, v87                         // 0000000063EC: D048004E 0002AF57
	v_add3_u32 v228, v87, v231, 1                              // 0000000063F4: D1FF00E4 0207CF57
	v_cndmask_b32_e64 v33, v228, v230, s[78:79]                // 0000000063FC: D1000021 013BCDE4
	v_perm_b32 v81, v33, v32, s64                              // 000000006404: D1ED0051 01024121
	v_mfma_f32_16x16x16_bf16 v[200:203], v[126:127], v[166:167], v[200:203]// 00000000640C: D3E100C8 07234D7E
	v_mov_b32_dpp v18, v76 quad_perm:[1,0,3,2] row_mask:0xf bank_mask:0xf// 000000006414: 7E2402FA FF00B14C
	v_perm_b32 v52, v18, v76, v17                              // 00000000641C: D1ED0034 04469912
	v_mov_b32_dpp v18, v77 quad_perm:[1,0,3,2] row_mask:0xf bank_mask:0xf// 000000006424: 7E2402FA FF00B14D
	v_perm_b32 v53, v18, v77, v17                              // 00000000642C: D1ED0035 04469B12
	v_mov_b32_dpp v18, v78 quad_perm:[1,0,3,2] row_mask:0xf bank_mask:0xf// 000000006434: 7E2402FA FF00B14E
	v_perm_b32 v54, v18, v78, v17                              // 00000000643C: D1ED0036 04469D12
	v_mfma_f32_16x16x16_bf16 v[204:207], v[128:129], v[166:167], v[204:207]// 000000006444: D3E100CC 07334D80
	v_mov_b32_dpp v18, v79 quad_perm:[1,0,3,2] row_mask:0xf bank_mask:0xf// 00000000644C: 7E2402FA FF00B14F
	v_perm_b32 v55, v18, v79, v17                              // 000000006454: D1ED0037 04469F12
	v_mov_b32_dpp v18, v80 quad_perm:[1,0,3,2] row_mask:0xf bank_mask:0xf// 00000000645C: 7E2402FA FF00B150
	v_perm_b32 v56, v18, v80, v17                              // 000000006464: D1ED0038 0446A112
	v_mov_b32_dpp v18, v81 quad_perm:[1,0,3,2] row_mask:0xf bank_mask:0xf// 00000000646C: 7E2402FA FF00B151
	v_perm_b32 v57, v18, v81, v17                              // 000000006474: D1ED0039 0446A312
	v_mfma_f32_16x16x16_bf16 v[208:211], v[130:131], v[166:167], v[208:211]// 00000000647C: D3E100D0 07434D82
	ds_write_b32 v20, v52 offset:17408                         // 000000006484: D81A4400 00003414
	ds_write_b32 v20, v53 offset:17952                         // 00000000648C: D81A4620 00003514
	v_mfma_f32_16x16x16_bf16 v[212:215], v[124:125], v[168:169], v[212:215]// 000000006494: D3E100D4 0753517C
	v_subrev_f32_dpp v88, v177, v88 quad_perm:[0,0,0,0] row_mask:0xf bank_mask:0xf// 00000000649C: 06B0B0FA FF0000B1
	v_subrev_f32_dpp v89, v177, v89 quad_perm:[1,1,1,1] row_mask:0xf bank_mask:0xf// 0000000064A4: 06B2B2FA FF0055B1
	v_subrev_f32_dpp v90, v177, v90 quad_perm:[2,2,2,2] row_mask:0xf bank_mask:0xf// 0000000064AC: 06B4B4FA FF00AAB1
	v_subrev_f32_dpp v91, v177, v91 quad_perm:[3,3,3,3] row_mask:0xf bank_mask:0xf// 0000000064B4: 06B6B6FA FF00FFB1
	v_subrev_f32_dpp v92, v177, v92 quad_perm:[0,0,0,0] row_mask:0xf bank_mask:0xf// 0000000064BC: 06B8B8FA FF0000B1
	v_subrev_f32_dpp v93, v177, v93 quad_perm:[1,1,1,1] row_mask:0xf bank_mask:0xf// 0000000064C4: 06BABAFA FF0055B1
	v_mfma_f32_16x16x16_bf16 v[216:219], v[126:127], v[168:169], v[216:219]// 0000000064CC: D3E100D8 0763517E
	ds_write_b32 v20, v54 offset:19712                         // 0000000064D4: D81A4D00 00003614
	ds_write_b32 v20, v55 offset:20256                         // 0000000064DC: D81A4F20 00003714
	v_mfma_f32_16x16x16_bf16 v[220:223], v[128:129], v[168:169], v[220:223]// 0000000064E4: D3E100DC 07735180
	v_subrev_f32_dpp v94, v177, v94 quad_perm:[2,2,2,2] row_mask:0xf bank_mask:0xf// 0000000064EC: 06BCBCFA FF00AAB1
	v_subrev_f32_dpp v95, v177, v95 quad_perm:[3,3,3,3] row_mask:0xf bank_mask:0xf// 0000000064F4: 06BEBEFA FF00FFB1
	v_subrev_f32_dpp v96, v177, v96 quad_perm:[0,0,0,0] row_mask:0xf bank_mask:0xf// 0000000064FC: 06C0C0FA FF0000B1
	v_subrev_f32_dpp v97, v177, v97 quad_perm:[1,1,1,1] row_mask:0xf bank_mask:0xf// 000000006504: 06C2C2FA FF0055B1
	v_subrev_f32_dpp v98, v177, v98 quad_perm:[2,2,2,2] row_mask:0xf bank_mask:0xf// 00000000650C: 06C4C4FA FF00AAB1
	v_subrev_f32_dpp v99, v177, v99 quad_perm:[3,3,3,3] row_mask:0xf bank_mask:0xf// 000000006514: 06C6C6FA FF00FFB1
	v_mfma_f32_16x16x16_bf16 v[224:227], v[130:131], v[168:169], v[224:227]// 00000000651C: D3E100E0 07835182
	ds_write_b32 v20, v56 offset:22016                         // 000000006524: D81A5600 00003814
	ds_write_b32 v20, v57 offset:22560                         // 00000000652C: D81A5820 00003914
	v_mfma_f32_16x16x16_bf16 v[180:183], v[132:133], v[170:171], v[180:183]// 000000006534: D3E100B4 06D35584
	v_mul_f32_e32 v88, v64, v88                                // 00000000653C: 0AB0B140
	v_mul_f32_e32 v89, v65, v89                                // 000000006540: 0AB2B341
	v_mul_f32_e32 v90, v66, v90                                // 000000006544: 0AB4B542
	v_mul_f32_e32 v91, v67, v91                                // 000000006548: 0AB6B743
	v_mul_f32_e32 v92, v68, v92                                // 00000000654C: 0AB8B944
	v_mul_f32_e32 v93, v69, v93                                // 000000006550: 0ABABB45
	v_mfma_f32_16x16x16_bf16 v[184:187], v[134:135], v[170:171], v[184:187]// 000000006554: D3E100B8 06E35586
	v_mul_f32_e32 v94, v70, v94                                // 00000000655C: 0ABCBD46
	v_mul_f32_e32 v95, v71, v95                                // 000000006560: 0ABEBF47
	v_mul_f32_e32 v96, v72, v96                                // 000000006564: 0AC0C148
	v_mul_f32_e32 v97, v73, v97                                // 000000006568: 0AC2C349
	v_mul_f32_e32 v98, v74, v98                                // 00000000656C: 0AC4C54A
	v_mul_f32_e32 v99, v75, v99                                // 000000006570: 0AC6C74B
	v_mfma_f32_16x16x16_bf16 v[188:191], v[136:137], v[170:171], v[188:191]// 000000006574: D3E100BC 06F35588
	v_cmp_u_f32_e64 s[78:79], v88, v88                         // 00000000657C: D048004E 0002B158
	v_add3_u32 v228, v88, v231, 1                              // 000000006584: D1FF00E4 0207CF58
	v_cndmask_b32_e64 v32, v228, v230, s[78:79]                // 00000000658C: D1000020 013BCDE4
	v_cmp_u_f32_e64 s[78:79], v89, v89                         // 000000006594: D048004E 0002B359
	v_add3_u32 v228, v89, v231, 1                              // 00000000659C: D1FF00E4 0207CF59
	v_cndmask_b32_e64 v33, v228, v230, s[78:79]                // 0000000065A4: D1000021 013BCDE4
	v_perm_b32 v82, v33, v32, s64                              // 0000000065AC: D1ED0052 01024121
	v_cmp_u_f32_e64 s[78:79], v90, v90                         // 0000000065B4: D048004E 0002B55A
	v_add3_u32 v228, v90, v231, 1                              // 0000000065BC: D1FF00E4 0207CF5A
	v_cndmask_b32_e64 v32, v228, v230, s[78:79]                // 0000000065C4: D1000020 013BCDE4
	v_cmp_u_f32_e64 s[78:79], v91, v91                         // 0000000065CC: D048004E 0002B75B
	v_add3_u32 v228, v91, v231, 1                              // 0000000065D4: D1FF00E4 0207CF5B
	v_cndmask_b32_e64 v33, v228, v230, s[78:79]                // 0000000065DC: D1000021 013BCDE4
	v_perm_b32 v83, v33, v32, s64                              // 0000000065E4: D1ED0053 01024121
	v_cmp_u_f32_e64 s[78:79], v92, v92                         // 0000000065EC: D048004E 0002B95C
	v_add3_u32 v228, v92, v231, 1                              // 0000000065F4: D1FF00E4 0207CF5C
	v_cndmask_b32_e64 v32, v228, v230, s[78:79]                // 0000000065FC: D1000020 013BCDE4
	v_cmp_u_f32_e64 s[78:79], v93, v93                         // 000000006604: D048004E 0002BB5D
	v_add3_u32 v228, v93, v231, 1                              // 00000000660C: D1FF00E4 0207CF5D
	v_cndmask_b32_e64 v33, v228, v230, s[78:79]                // 000000006614: D1000021 013BCDE4
	v_perm_b32 v84, v33, v32, s64                              // 00000000661C: D1ED0054 01024121
	v_cmp_u_f32_e64 s[78:79], v94, v94                         // 000000006624: D048004E 0002BD5E
	v_add3_u32 v228, v94, v231, 1                              // 00000000662C: D1FF00E4 0207CF5E
	v_cndmask_b32_e64 v32, v228, v230, s[78:79]                // 000000006634: D1000020 013BCDE4
	v_cmp_u_f32_e64 s[78:79], v95, v95                         // 00000000663C: D048004E 0002BF5F
	v_add3_u32 v228, v95, v231, 1                              // 000000006644: D1FF00E4 0207CF5F
	v_cndmask_b32_e64 v33, v228, v230, s[78:79]                // 00000000664C: D1000021 013BCDE4
	v_perm_b32 v85, v33, v32, s64                              // 000000006654: D1ED0055 01024121
	v_cmp_u_f32_e64 s[78:79], v96, v96                         // 00000000665C: D048004E 0002C160
	v_add3_u32 v228, v96, v231, 1                              // 000000006664: D1FF00E4 0207CF60
	v_cndmask_b32_e64 v32, v228, v230, s[78:79]                // 00000000666C: D1000020 013BCDE4
	v_cmp_u_f32_e64 s[78:79], v97, v97                         // 000000006674: D048004E 0002C361
	v_add3_u32 v228, v97, v231, 1                              // 00000000667C: D1FF00E4 0207CF61
	v_cndmask_b32_e64 v33, v228, v230, s[78:79]                // 000000006684: D1000021 013BCDE4
	v_perm_b32 v86, v33, v32, s64                              // 00000000668C: D1ED0056 01024121
	v_cmp_u_f32_e64 s[78:79], v98, v98                         // 000000006694: D048004E 0002C562
	v_add3_u32 v228, v98, v231, 1                              // 00000000669C: D1FF00E4 0207CF62
	v_cndmask_b32_e64 v32, v228, v230, s[78:79]                // 0000000066A4: D1000020 013BCDE4
	v_cmp_u_f32_e64 s[78:79], v99, v99                         // 0000000066AC: D048004E 0002C763
	v_add3_u32 v228, v99, v231, 1                              // 0000000066B4: D1FF00E4 0207CF63
	v_cndmask_b32_e64 v33, v228, v230, s[78:79]                // 0000000066BC: D1000021 013BCDE4
	v_perm_b32 v87, v33, v32, s64                              // 0000000066C4: D1ED0057 01024121
	v_mfma_f32_16x16x16_bf16 v[192:195], v[138:139], v[170:171], v[192:195]// 0000000066CC: D3E100C0 0703558A
	v_mov_b32_dpp v18, v82 quad_perm:[1,0,3,2] row_mask:0xf bank_mask:0xf// 0000000066D4: 7E2402FA FF00B152
	v_perm_b32 v58, v18, v82, v17                              // 0000000066DC: D1ED003A 0446A512
	v_mov_b32_dpp v18, v83 quad_perm:[1,0,3,2] row_mask:0xf bank_mask:0xf// 0000000066E4: 7E2402FA FF00B153
	v_perm_b32 v59, v18, v83, v17                              // 0000000066EC: D1ED003B 0446A712
	v_mov_b32_dpp v18, v84 quad_perm:[1,0,3,2] row_mask:0xf bank_mask:0xf// 0000000066F4: 7E2402FA FF00B154
	v_perm_b32 v60, v18, v84, v17                              // 0000000066FC: D1ED003C 0446A912
	v_mfma_f32_16x16x16_bf16 v[196:199], v[132:133], v[172:173], v[196:199]// 000000006704: D3E100C4 07135984
	v_mov_b32_dpp v18, v85 quad_perm:[1,0,3,2] row_mask:0xf bank_mask:0xf// 00000000670C: 7E2402FA FF00B155
	v_perm_b32 v61, v18, v85, v17                              // 000000006714: D1ED003D 0446AB12
	v_mov_b32_dpp v18, v86 quad_perm:[1,0,3,2] row_mask:0xf bank_mask:0xf// 00000000671C: 7E2402FA FF00B156
	v_perm_b32 v62, v18, v86, v17                              // 000000006724: D1ED003E 0446AD12
	v_mov_b32_dpp v18, v87 quad_perm:[1,0,3,2] row_mask:0xf bank_mask:0xf// 00000000672C: 7E2402FA FF00B157
	v_perm_b32 v63, v18, v87, v17                              // 000000006734: D1ED003F 0446AF12
	v_mfma_f32_16x16x16_bf16 v[200:203], v[134:135], v[172:173], v[200:203]// 00000000673C: D3E100C8 07235986
	ds_write_b32 v20, v58 offset:24320                         // 000000006744: D81A5F00 00003A14
	ds_write_b32 v20, v59 offset:24864                         // 00000000674C: D81A6120 00003B14
	v_mfma_f32_16x16x16_bf16 v[204:207], v[136:137], v[172:173], v[204:207]// 000000006754: D3E100CC 07335988
	v_mfma_f32_16x16x16_bf16 v[208:211], v[138:139], v[172:173], v[208:211]// 00000000675C: D3E100D0 0743598A
	ds_write_b32 v20, v60 offset:26624                         // 000000006764: D81A6800 00003C14
	ds_write_b32 v20, v61 offset:27168                         // 00000000676C: D81A6A20 00003D14
	ds_write_b32 v20, v62 offset:28928                         // 000000006774: D81A7100 00003E14
	ds_write_b32 v20, v63 offset:29472                         // 00000000677C: D81A7320 00003F14
	v_mfma_f32_16x16x16_bf16 v[212:215], v[132:133], v[174:175], v[212:215]// 000000006784: D3E100D4 07535D84
	v_mfma_f32_16x16x16_bf16 v[216:219], v[134:135], v[174:175], v[216:219]// 00000000678C: D3E100D8 07635D86
	ds_write_b32 v15, v100 offset:4352                         // 000000006794: D81A1100 0000640F
	ds_write_b32 v15, v101 offset:5408                         // 00000000679C: D81A1520 0000650F
	v_mfma_f32_16x16x16_bf16 v[220:223], v[136:137], v[174:175], v[220:223]// 0000000067A4: D3E100DC 07735D88
	s_nop 0                                                    // 0000000067AC: BF800000
	s_nop 0                                                    // 0000000067B0: BF800000
	s_nop 0                                                    // 0000000067B4: BF800000
	v_mfma_f32_16x16x16_bf16 v[224:227], v[138:139], v[174:175], v[224:227]// 0000000067B8: D3E100E0 07835D8A
	ds_write_b32 v15, v102 offset:6528                         // 0000000067C0: D81A1980 0000660F
	ds_write_b32 v15, v103 offset:7584                         // 0000000067C8: D81A1DA0 0000670F
	s_barrier                                                  // 0000000067D0: BF8A0000
	v_mfma_f32_16x16x16_bf16 a[112:115], a[96:97], v[76:77], a[112:115]// 0000000067D4: D3E18070 0DC29960
	buffer_atomic_add_f32 v156, v6, s[32:35], 0 idxen          // 0000000067DC: E1342000 80089C06
	v_mfma_f32_16x16x16_bf16 a[116:119], a[98:99], v[76:77], a[116:119]// 0000000067E4: D3E18074 0DD29962
	ds_read_b32 v140, v23 offset:39936                         // 0000000067EC: D86C9C00 8C000017
	ds_read_b32 v144, v23 offset:40000                         // 0000000067F4: D86C9C40 90000017
	ds_read_b32 v176, v23 offset:40192                         // 0000000067FC: D86C9D00 B0000017
	ds_read_b32 v177, v23 offset:40256                         // 000000006804: D86C9D40 B1000017
	v_mfma_f32_16x16x16_bf16 a[120:123], a[100:101], v[76:77], a[120:123]// 00000000680C: D3E18078 0DE29964
	s_waitcnt lgkmcnt(8)                                       // 000000006814: BF8CC87F
	s_barrier                                                  // 000000006818: BF8A0000
	v_mfma_f32_16x16x16_bf16 a[124:127], a[102:103], v[76:77], a[124:127]// 00000000681C: D3E1807C 0DF29966
	ds_read_b128 v[52:55], v19 offset:17408                    // 000000006824: D9FE4400 34000013
	v_mfma_f32_16x16x16_bf16 a[128:131], a[96:97], v[78:79], a[128:131]// 00000000682C: D3E18080 0E029D60
	v_mfma_f32_16x16x16_bf16 a[132:135], a[98:99], v[78:79], a[132:135]// 000000006834: D3E18084 0E129D62
	ds_read_b128 v[56:59], v19 offset:18560                    // 00000000683C: D9FE4880 38000013
	v_mfma_f32_16x16x16_bf16 a[136:139], a[100:101], v[78:79], a[136:139]// 000000006844: D3E18088 0E229D64
	buffer_atomic_add_f32 v157, v7, s[32:35], 0 idxen          // 00000000684C: E1342000 80089D07
	v_mfma_f32_16x16x16_bf16 a[140:143], a[102:103], v[78:79], a[140:143]// 000000006854: D3E1808C 0E329D66
	ds_read_b128 v[60:63], v19 offset:19712                    // 00000000685C: D9FE4D00 3C000013
	v_mfma_f32_16x16x16_bf16 a[144:147], a[96:97], v[80:81], a[144:147]// 000000006864: D3E18090 0E42A160
	v_mfma_f32_16x16x16_bf16 a[148:151], a[98:99], v[80:81], a[148:151]// 00000000686C: D3E18094 0E52A162
	ds_read_b128 v[64:67], v19 offset:20864                    // 000000006874: D9FE5180 40000013
	v_mfma_f32_16x16x16_bf16 a[152:155], a[100:101], v[80:81], a[152:155]// 00000000687C: D3E18098 0E62A164
	v_mfma_f32_16x16x16_bf16 a[156:159], a[102:103], v[80:81], a[156:159]// 000000006884: D3E1809C 0E72A166
	ds_read_b128 v[68:71], v19 offset:22016                    // 00000000688C: D9FE5600 44000013
	v_mfma_f32_16x16x16_bf16 a[112:115], a[104:105], v[82:83], a[112:115]// 000000006894: D3E18070 0DC2A568
	buffer_atomic_add_f32 v158, v6, s[32:35], 0 idxen offset:128// 00000000689C: E1342080 80089E06
	v_mfma_f32_16x16x16_bf16 a[116:119], a[106:107], v[82:83], a[116:119]// 0000000068A4: D3E18074 0DD2A56A
	ds_read_b128 v[72:75], v19 offset:23168                    // 0000000068AC: D9FE5A80 48000013
	v_mfma_f32_16x16x16_bf16 a[120:123], a[108:109], v[82:83], a[120:123]// 0000000068B4: D3E18078 0DE2A56C
	v_mfma_f32_16x16x16_bf16 a[124:127], a[110:111], v[82:83], a[124:127]// 0000000068BC: D3E1807C 0DF2A56E
	ds_write_b32 v15, v104 offset:13056                        // 0000000068C4: D81A3300 0000680F
	v_mfma_f32_16x16x16_bf16 a[128:131], a[104:105], v[84:85], a[128:131]// 0000000068CC: D3E18080 0E02A968
	v_mfma_f32_16x16x16_bf16 a[132:135], a[106:107], v[84:85], a[132:135]// 0000000068D4: D3E18084 0E12A96A
	ds_write_b32 v15, v105 offset:14112                        // 0000000068DC: D81A3720 0000690F
	v_mfma_f32_16x16x16_bf16 a[136:139], a[108:109], v[84:85], a[136:139]// 0000000068E4: D3E18088 0E22A96C
	buffer_atomic_add_f32 v159, v7, s[32:35], 0 idxen offset:128// 0000000068EC: E1342080 80089F07
	v_mfma_f32_16x16x16_bf16 a[140:143], a[110:111], v[84:85], a[140:143]// 0000000068F4: D3E1808C 0E32A96E
	ds_write_b32 v15, v106 offset:15232                        // 0000000068FC: D81A3B80 00006A0F
	v_mfma_f32_16x16x16_bf16 a[144:147], a[104:105], v[86:87], a[144:147]// 000000006904: D3E18090 0E42AD68
	v_mfma_f32_16x16x16_bf16 a[148:151], a[106:107], v[86:87], a[148:151]// 00000000690C: D3E18094 0E52AD6A
	ds_write_b32 v15, v107 offset:16288                        // 000000006914: D81A3FA0 00006B0F
	v_mfma_f32_16x16x16_bf16 a[152:155], a[108:109], v[86:87], a[152:155]// 00000000691C: D3E18098 0E62AD6C
	v_mfma_f32_16x16x16_bf16 a[156:159], a[110:111], v[86:87], a[156:159]// 000000006924: D3E1809C 0E72AD6E
	s_waitcnt vmcnt(8) lgkmcnt(4)                              // 00000000692C: BF8C0478
	s_barrier                                                  // 000000006930: BF8A0000
	v_mfma_f32_16x16x16_bf16 v[148:151], v[52:53], a[24:25], 0 // 000000006934: D3E10094 12023134
	v_mul_f32_e32 v140, s48, v140                              // 00000000693C: 0B191830
	v_mul_f32_e32 v144, s48, v144                              // 000000006940: 0B212030
	s_nop 0                                                    // 000000006944: BF800000
	v_mfma_f32_16x16x16_bf16 v[148:151], v[54:55], a[28:29], v[148:151]// 000000006948: D3E10094 16523936
	ds_read_b128 a[96:99], v12                                 // 000000006950: DBFE0000 6000000C
	buffer_load_dword v40, v1, s[8:11], 0 idxen                // 000000006958: E0502000 80022801
	v_mfma_f32_16x16x16_bf16 v[148:151], v[56:57], a[32:33], v[148:151]// 000000006960: D3E10094 16524138
	v_mfma_f32_16x16x16_bf16 v[148:151], v[58:59], a[36:37], v[148:151]// 000000006968: D3E10094 1652493A
	ds_read_b128 a[100:103], v12 offset:512                    // 000000006970: DBFE0200 6400000C
	buffer_load_dword v41, v2, s[8:11], 0 idxen                // 000000006978: E0502000 80022902
	v_mfma_f32_16x16x16_bf16 v[148:151], v[60:61], a[40:41], v[148:151]// 000000006980: D3E10094 1652513C
	v_perm_b32 v100, v37, v36, s63                             // 000000006988: D1ED0064 00FE4925
	v_perm_b32 v101, v37, v36, s64                             // 000000006990: D1ED0065 01024925
	v_mfma_f32_16x16x16_bf16 v[148:151], v[62:63], a[44:45], v[148:151]// 000000006998: D3E10094 1652593E
	ds_read_b128 a[104:107], v12 offset:2176                   // 0000000069A0: DBFE0880 6800000C
	buffer_load_dword v42, v3, s[8:11], 0 idxen                // 0000000069A8: E0502000 80022A03
	v_mfma_f32_16x16x16_bf16 v[148:151], v[64:65], a[48:49], v[148:151]// 0000000069B0: D3E10094 16526140
	v_perm_b32 v102, v39, v38, s63                             // 0000000069B8: D1ED0066 00FE4D27
	v_perm_b32 v103, v39, v38, s64                             // 0000000069C0: D1ED0067 01024D27
	v_mfma_f32_16x16x16_bf16 v[148:151], v[66:67], a[52:53], v[148:151]// 0000000069C8: D3E10094 16526942
	ds_read_b128 a[108:111], v12 offset:2688                   // 0000000069D0: DBFE0A80 6C00000C
	buffer_load_dword v43, v4, s[8:11], 0 idxen                // 0000000069D8: E0502000 80022B04
	v_mfma_f32_16x16x16_bf16 v[148:151], v[68:69], a[56:57], v[148:151]// 0000000069E0: D3E10094 16527144
	v_perm_b32 v104, v45, v44, s63                             // 0000000069E8: D1ED0068 00FE592D
	v_perm_b32 v105, v45, v44, s64                             // 0000000069F0: D1ED0069 0102592D
	v_mfma_f32_16x16x16_bf16 v[148:151], v[70:71], a[60:61], v[148:151]// 0000000069F8: D3E10094 16527946
	ds_read_b128 v[108:111], v12 offset:8704                   // 000000006A00: D9FE2200 6C00000C
	buffer_load_dword v48, v232, s[20:23], 0 idxen             // 000000006A08: E0502000 800530E8
	v_mfma_f32_16x16x16_bf16 v[148:151], v[72:73], a[64:65], v[148:151]// 000000006A10: D3E10094 16528148
	v_perm_b32 v106, v47, v46, s63                             // 000000006A18: D1ED006A 00FE5D2F
	v_perm_b32 v107, v47, v46, s64                             // 000000006A20: D1ED006B 01025D2F
	v_mfma_f32_16x16x16_bf16 v[148:151], v[74:75], a[68:69], v[148:151]// 000000006A28: D3E10094 1652894A
	ds_read_b128 v[112:115], v12 offset:9216                   // 000000006A30: D9FE2400 7000000C
	buffer_load_dword v49, v233, s[20:23], 0 idxen             // 000000006A38: E0502000 800531E9
	v_mfma_f32_16x16x16_bf16 v[152:155], v[52:53], a[26:27], 0 // 000000006A40: D3E10098 12023534
	v_mov_b32_dpp v143, v140 quad_perm:[3,3,3,3] row_mask:0xf bank_mask:0xf// 000000006A48: 7F1E02FA FF00FF8C
	v_mov_b32_dpp v142, v140 quad_perm:[2,2,2,2] row_mask:0xf bank_mask:0xf// 000000006A50: 7F1C02FA FF00AA8C
	v_mov_b32_dpp v141, v140 quad_perm:[1,1,1,1] row_mask:0xf bank_mask:0xf// 000000006A58: 7F1A02FA FF00558C
	v_mov_b32_dpp v140, v140 quad_perm:[0,0,0,0] row_mask:0xf bank_mask:0xf// 000000006A60: 7F1802FA FF00008C
	v_mfma_f32_16x16x16_bf16 v[152:155], v[54:55], a[30:31], v[152:155]// 000000006A68: D3E10098 16623D36
	ds_read_b128 v[116:119], v12 offset:10880                  // 000000006A70: D9FE2A80 7400000C
	buffer_load_dword v50, v234, s[20:23], 0 idxen             // 000000006A78: E0502000 800532EA
	v_mfma_f32_16x16x16_bf16 v[152:155], v[56:57], a[34:35], v[152:155]// 000000006A80: D3E10098 16624538
	v_mov_b32_dpp v147, v144 quad_perm:[3,3,3,3] row_mask:0xf bank_mask:0xf// 000000006A88: 7F2602FA FF00FF90
	v_mov_b32_dpp v146, v144 quad_perm:[2,2,2,2] row_mask:0xf bank_mask:0xf// 000000006A90: 7F2402FA FF00AA90
	v_mov_b32_dpp v145, v144 quad_perm:[1,1,1,1] row_mask:0xf bank_mask:0xf// 000000006A98: 7F2202FA FF005590
	v_mov_b32_dpp v144, v144 quad_perm:[0,0,0,0] row_mask:0xf bank_mask:0xf// 000000006AA0: 7F2002FA FF000090
	s_add_u32 s60, 0x80, s59                                   // 000000006AA8: 803C3BFF 00000080
	v_mfma_f32_16x16x16_bf16 v[152:155], v[58:59], a[38:39], v[152:155]// 000000006AB0: D3E10098 16624D3A
	ds_read_b128 v[120:123], v12 offset:11392                  // 000000006AB8: D9FE2C80 7800000C
	buffer_load_dword v51, v235, s[20:23], 0 idxen             // 000000006AC0: E0502000 800533EB
	v_mfma_f32_16x16x16_bf16 v[152:155], v[60:61], a[42:43], v[152:155]// 000000006AC8: D3E10098 1662553C
	s_cmp_lt_u32 s60, s58                                      // 000000006AD0: BF0A3A3C
	s_cselect_b32 s68, s68, 0                                  // 000000006AD4: 85448044
	s_cselect_b32 s100, s100, 0                                // 000000006AD8: 85648064
	s_cselect_b32 s69, s69, 0                                  // 000000006ADC: 85458045
	v_mfma_f32_16x16x16_bf16 v[152:155], v[62:63], a[46:47], v[152:155]// 000000006AE0: D3E10098 16625D3E
	buffer_load_dword v11, s[24:27], 0 idxen lds               // 000000006AE8: E0512000 8006000B
	v_mfma_f32_16x16x16_bf16 v[152:155], v[64:65], a[50:51], v[152:155]// 000000006AF0: D3E10098 16626540
	v_add_u32_e32 v1, s68, v1                                  // 000000006AF8: 68020244
	v_add_u32_e32 v2, s68, v2                                  // 000000006AFC: 68040444
	v_add_u32_e32 v3, s68, v3                                  // 000000006B00: 68060644
	v_add_u32_e32 v4, s68, v4                                  // 000000006B04: 68080844
	v_mfma_f32_16x16x16_bf16 v[152:155], v[66:67], a[54:55], v[152:155]// 000000006B08: D3E10098 16626D42
	v_add_u32_e32 v232, s100, v232                             // 000000006B10: 69D1D064
	v_add_u32_e32 v233, s100, v233                             // 000000006B14: 69D3D264
	v_add_u32_e32 v234, s100, v234                             // 000000006B18: 69D5D464
	v_add_u32_e32 v235, s100, v235                             // 000000006B1C: 69D7D664
	v_mfma_f32_16x16x16_bf16 v[152:155], v[68:69], a[58:59], v[152:155]// 000000006B20: D3E10098 16627544
	s_mov_b32 m0, s80                                          // 000000006B28: BEFC0050
	v_add_u32_e32 v11, s69, v11                                // 000000006B2C: 68161645
	v_mfma_f32_16x16x16_bf16 v[152:155], v[70:71], a[62:63], v[152:155]// 000000006B30: D3E10098 16627D46
	s_cmp_ge_u32 s59, s73                                      // 000000006B38: BF09493B
	s_cselect_b32 s66, s67, s66                                // 000000006B3C: 85424243
	v_mfma_f32_16x16x16_bf16 v[152:155], v[72:73], a[66:67], v[152:155]// 000000006B40: D3E10098 16628548
	s_addk_i32 s59, 0x20                                       // 000000006B48: B73B0020
	s_nop 0                                                    // 000000006B4C: BF800000
	s_cmp_lt_i32 s59, s58                                      // 000000006B50: BF043A3B
	v_mfma_f32_16x16x16_bf16 v[152:155], v[74:75], a[70:71], v[152:155]// 000000006B54: D3E10098 16628D4A
	s_cbranch_scc0 label_104F                                  // 000000006B5C: BF8404E5
	s_waitcnt lgkmcnt(4)                                       // 000000006B60: BF8CC47F
	s_barrier                                                  // 000000006B64: BF8A0000
	v_mfma_f32_16x16x16_bf16 v[52:55], a[96:97], a[0:1], 0     // 000000006B68: D3E10034 1A020160
	ds_write_b32 v13, v44 offset:8704                          // 000000006B70: D81A2200 00002C0D
	ds_write_b32 v13, v45 offset:9760                          // 000000006B78: D81A2620 00002D0D
	v_mfma_f32_16x16x16_bf16 v[52:55], a[98:99], a[2:3], v[52:55]// 000000006B80: D3E10034 1CD20562
	v_mul_f32_e32 v148, s47, v148                              // 000000006B88: 0B29282F
	v_mul_f32_e32 v149, s47, v149                              // 000000006B8C: 0B2B2A2F
	v_mfma_f32_16x16x16_bf16 v[52:55], a[100:101], a[4:5], v[52:55]// 000000006B90: D3E10034 1CD20964
	ds_write_b32 v13, v46 offset:10880                         // 000000006B98: D81A2A80 00002E0D
	ds_write_b32 v13, v47 offset:11936                         // 000000006BA0: D81A2EA0 00002F0D
	v_mfma_f32_16x16x16_bf16 v[52:55], a[102:103], a[6:7], v[52:55]// 000000006BA8: D3E10034 1CD20D66
	v_mul_f32_e32 v150, s47, v150                              // 000000006BB0: 0B2D2C2F
	v_mul_f32_e32 v151, s47, v151                              // 000000006BB4: 0B2F2E2F
	v_mfma_f32_16x16x16_bf16 v[56:59], a[96:97], a[8:9], 0     // 000000006BB8: D3E10038 1A021160
	ds_write_b64 v22, v[148:149] offset:31232                  // 000000006BC0: D89A7A00 00009416
	v_mfma_f32_16x16x16_bf16 v[56:59], a[98:99], a[10:11], v[56:59]// 000000006BC8: D3E10038 1CE21562
	v_mul_f32_e32 v152, s47, v152                              // 000000006BD0: 0B31302F
	v_mul_f32_e32 v153, s47, v153                              // 000000006BD4: 0B33322F
	v_mfma_f32_16x16x16_bf16 v[56:59], a[100:101], a[12:13], v[56:59]// 000000006BD8: D3E10038 1CE21964
	ds_write_b64 v22, v[150:151] offset:31744                  // 000000006BE0: D89A7C00 00009616
	v_mfma_f32_16x16x16_bf16 v[56:59], a[102:103], a[14:15], v[56:59]// 000000006BE8: D3E10038 1CE21D66
	v_mul_f32_e32 v154, s47, v154                              // 000000006BF0: 0B35342F
	v_mul_f32_e32 v155, s47, v155                              // 000000006BF4: 0B37362F
	v_mfma_f32_16x16x16_bf16 v[60:63], a[96:97], a[16:17], 0   // 000000006BF8: D3E1003C 1A022160
	ds_write_b64 v22, v[152:153] offset:32256                  // 000000006C00: D89A7E00 00009816
	v_mfma_f32_16x16x16_bf16 v[60:63], a[98:99], a[18:19], v[60:63]// 000000006C08: D3E1003C 1CF22562
	buffer_atomic_add_f32 v160, v8, s[32:35], 0 idxen          // 000000006C10: E1342000 8008A008
	v_mfma_f32_16x16x16_bf16 v[60:63], a[100:101], a[20:21], v[60:63]// 000000006C18: D3E1003C 1CF22964
	ds_write_b64 v22, v[154:155] offset:32768                  // 000000006C20: D89A8000 00009A16
	v_mfma_f32_16x16x16_bf16 v[60:63], a[102:103], a[22:23], v[60:63]// 000000006C28: D3E1003C 1CF22D66
	v_mfma_f32_16x16x16_bf16 v[64:67], a[104:105], a[0:1], 0   // 000000006C30: D3E10040 1A020168
	ds_read_b128 v[124:127], v14 offset:13056                  // 000000006C38: D9FE3300 7C00000E
	ds_write_b32 v13, v36                                      // 000000006C40: D81A0000 0000240D
	v_mfma_f32_16x16x16_bf16 v[64:67], a[106:107], a[2:3], v[64:67]// 000000006C48: D3E10040 1D02056A
	buffer_atomic_add_f32 v161, v9, s[32:35], 0 idxen          // 000000006C50: E1342000 8008A109
	v_mfma_f32_16x16x16_bf16 v[64:67], a[108:109], a[4:5], v[64:67]// 000000006C58: D3E10040 1D02096C
	v_mfma_f32_16x16x16_bf16 v[64:67], a[110:111], a[6:7], v[64:67]// 000000006C60: D3E10040 1D020D6E
	ds_read_b128 v[128:131], v14 offset:13568                  // 000000006C68: D9FE3500 8000000E
	ds_write_b32 v13, v37 offset:1056                          // 000000006C70: D81A0420 0000250D
	v_mfma_f32_16x16x16_bf16 v[68:71], a[104:105], a[8:9], 0   // 000000006C78: D3E10044 1A021168
	buffer_atomic_add_f32 v162, v8, s[32:35], 0 idxen offset:128// 000000006C80: E1342080 8008A208
	v_mfma_f32_16x16x16_bf16 v[68:71], a[106:107], a[10:11], v[68:71]// 000000006C88: D3E10044 1D12156A
	v_mfma_f32_16x16x16_bf16 v[68:71], a[108:109], a[12:13], v[68:71]// 000000006C90: D3E10044 1D12196C
	ds_read_b128 v[132:135], v14 offset:15232                  // 000000006C98: D9FE3B80 8400000E
	ds_write_b32 v13, v38 offset:2176                          // 000000006CA0: D81A0880 0000260D
	v_mfma_f32_16x16x16_bf16 v[68:71], a[110:111], a[14:15], v[68:71]// 000000006CA8: D3E10044 1D121D6E
	v_mfma_f32_16x16x16_bf16 v[72:75], a[104:105], a[16:17], 0 // 000000006CB0: D3E10048 1A022168
	buffer_atomic_add_f32 v163, v9, s[32:35], 0 idxen offset:128// 000000006CB8: E1342080 8008A309
	v_mfma_f32_16x16x16_bf16 v[72:75], a[106:107], a[18:19], v[72:75]// 000000006CC0: D3E10048 1D22256A
	ds_read_b128 v[136:139], v14 offset:15744                  // 000000006CC8: D9FE3D80 8800000E
	ds_write_b32 v13, v39 offset:3232                          // 000000006CD0: D81A0CA0 0000270D
	v_mfma_f32_16x16x16_bf16 v[72:75], a[108:109], a[20:21], v[72:75]// 000000006CD8: D3E10048 1D22296C
	v_mfma_f32_16x16x16_bf16 v[72:75], a[110:111], a[22:23], v[72:75]// 000000006CE0: D3E10048 1D222D6E
	s_cmp_eq_i32 s82, 0                                        // 000000006CE8: BF008052
	s_cbranch_scc1 label_0CBE                                  // 000000006CEC: BF8500F0
	s_cmp_lt_i32 s74, 6                                        // 000000006CF0: BF04864A
	s_cbranch_scc0 label_0C45                                  // 000000006CF4: BF84007E
	s_lshl_b32 s60, s74, 5                                     // 000000006CF8: 8E3C854A
	s_lshl_b32 s61, 0, 4                                       // 000000006CFC: 8E3D8480
	s_add_i32 s60, s60, s61                                    // 000000006D00: 813C3D3C
	v_sub_i32 v32, v236, s60                                   // 000000006D04: D29D0020 000079EC
	s_mov_b32 s61, 0                                           // 000000006D0C: BEBD0080
	v_add_i32 v33, v32, s61                                    // 000000006D10: D29C0021 00007B20
	v_cmp_gt_i32_e64 s[60:61], v33, 0                          // 000000006D18: D0C4003C 00010121
	v_cmp_gt_i32_e64 s[70:71], v33, 1                          // 000000006D20: D0C40046 00010321
	v_cndmask_b32_e64 v52, v52, v178, s[60:61]                 // 000000006D28: D1000034 00F36534
	v_cndmask_b32_e64 v53, v53, v178, s[70:71]                 // 000000006D30: D1000035 011B6535
	v_cmp_gt_i32_e64 s[60:61], v33, 2                          // 000000006D38: D0C4003C 00010521
	v_cmp_gt_i32_e64 s[70:71], v33, 3                          // 000000006D40: D0C40046 00010721
	v_cndmask_b32_e64 v54, v54, v178, s[60:61]                 // 000000006D48: D1000036 00F36536
	v_cndmask_b32_e64 v55, v55, v178, s[70:71]                 // 000000006D50: D1000037 011B6537
	s_mov_b32 s61, 64                                          // 000000006D58: BEBD00C0
	v_add_i32 v33, v32, s61                                    // 000000006D5C: D29C0021 00007B20
	v_cmp_gt_i32_e64 s[60:61], v33, 0                          // 000000006D64: D0C4003C 00010121
	v_cmp_gt_i32_e64 s[70:71], v33, 1                          // 000000006D6C: D0C40046 00010321
	v_cndmask_b32_e64 v56, v56, v178, s[60:61]                 // 000000006D74: D1000038 00F36538
	v_cndmask_b32_e64 v57, v57, v178, s[70:71]                 // 000000006D7C: D1000039 011B6539
	v_cmp_gt_i32_e64 s[60:61], v33, 2                          // 000000006D84: D0C4003C 00010521
	v_cmp_gt_i32_e64 s[70:71], v33, 3                          // 000000006D8C: D0C40046 00010721
	v_cndmask_b32_e64 v58, v58, v178, s[60:61]                 // 000000006D94: D100003A 00F3653A
	v_cndmask_b32_e64 v59, v59, v178, s[70:71]                 // 000000006D9C: D100003B 011B653B
	s_mov_b32 s61, 0x80                                        // 000000006DA4: BEBD00FF 00000080
	v_add_i32 v33, v32, s61                                    // 000000006DAC: D29C0021 00007B20
	v_cmp_gt_i32_e64 s[60:61], v33, 0                          // 000000006DB4: D0C4003C 00010121
	v_cmp_gt_i32_e64 s[70:71], v33, 1                          // 000000006DBC: D0C40046 00010321
	v_cndmask_b32_e64 v60, v60, v178, s[60:61]                 // 000000006DC4: D100003C 00F3653C
	v_cndmask_b32_e64 v61, v61, v178, s[70:71]                 // 000000006DCC: D100003D 011B653D
	v_cmp_gt_i32_e64 s[60:61], v33, 2                          // 000000006DD4: D0C4003C 00010521
	v_cmp_gt_i32_e64 s[70:71], v33, 3                          // 000000006DDC: D0C40046 00010721
	v_cndmask_b32_e64 v62, v62, v178, s[60:61]                 // 000000006DE4: D100003E 00F3653E
	v_cndmask_b32_e64 v63, v63, v178, s[70:71]                 // 000000006DEC: D100003F 011B653F
	s_lshl_b32 s60, s74, 5                                     // 000000006DF4: 8E3C854A
	s_lshl_b32 s61, 1, 4                                       // 000000006DF8: 8E3D8481
	s_add_i32 s60, s60, s61                                    // 000000006DFC: 813C3D3C
	v_sub_i32 v32, v236, s60                                   // 000000006E00: D29D0020 000079EC
	s_mov_b32 s61, 0                                           // 000000006E08: BEBD0080
	v_add_i32 v33, v32, s61                                    // 000000006E0C: D29C0021 00007B20
	v_cmp_gt_i32_e64 s[60:61], v33, 0                          // 000000006E14: D0C4003C 00010121
	v_cmp_gt_i32_e64 s[70:71], v33, 1                          // 000000006E1C: D0C40046 00010321
	v_cndmask_b32_e64 v64, v64, v178, s[60:61]                 // 000000006E24: D1000040 00F36540
	v_cndmask_b32_e64 v65, v65, v178, s[70:71]                 // 000000006E2C: D1000041 011B6541
	v_cmp_gt_i32_e64 s[60:61], v33, 2                          // 000000006E34: D0C4003C 00010521
	v_cmp_gt_i32_e64 s[70:71], v33, 3                          // 000000006E3C: D0C40046 00010721
	v_cndmask_b32_e64 v66, v66, v178, s[60:61]                 // 000000006E44: D1000042 00F36542
	v_cndmask_b32_e64 v67, v67, v178, s[70:71]                 // 000000006E4C: D1000043 011B6543
	s_mov_b32 s61, 64                                          // 000000006E54: BEBD00C0
	v_add_i32 v33, v32, s61                                    // 000000006E58: D29C0021 00007B20
	v_cmp_gt_i32_e64 s[60:61], v33, 0                          // 000000006E60: D0C4003C 00010121
	v_cmp_gt_i32_e64 s[70:71], v33, 1                          // 000000006E68: D0C40046 00010321
	v_cndmask_b32_e64 v68, v68, v178, s[60:61]                 // 000000006E70: D1000044 00F36544
	v_cndmask_b32_e64 v69, v69, v178, s[70:71]                 // 000000006E78: D1000045 011B6545
	v_cmp_gt_i32_e64 s[60:61], v33, 2                          // 000000006E80: D0C4003C 00010521
	v_cmp_gt_i32_e64 s[70:71], v33, 3                          // 000000006E88: D0C40046 00010721
	v_cndmask_b32_e64 v70, v70, v178, s[60:61]                 // 000000006E90: D1000046 00F36546
	v_cndmask_b32_e64 v71, v71, v178, s[70:71]                 // 000000006E98: D1000047 011B6547
	s_mov_b32 s61, 0x80                                        // 000000006EA0: BEBD00FF 00000080
	v_add_i32 v33, v32, s61                                    // 000000006EA8: D29C0021 00007B20
	v_cmp_gt_i32_e64 s[60:61], v33, 0                          // 000000006EB0: D0C4003C 00010121
	v_cmp_gt_i32_e64 s[70:71], v33, 1                          // 000000006EB8: D0C40046 00010321
	v_cndmask_b32_e64 v72, v72, v178, s[60:61]                 // 000000006EC0: D1000048 00F36548
	v_cndmask_b32_e64 v73, v73, v178, s[70:71]                 // 000000006EC8: D1000049 011B6549
	v_cmp_gt_i32_e64 s[60:61], v33, 2                          // 000000006ED0: D0C4003C 00010521
	v_cmp_gt_i32_e64 s[70:71], v33, 3                          // 000000006ED8: D0C40046 00010721
	v_cndmask_b32_e64 v74, v74, v178, s[60:61]                 // 000000006EE0: D100004A 00F3654A
	v_cndmask_b32_e64 v75, v75, v178, s[70:71]                 // 000000006EE8: D100004B 011B654B

0000000000006ef0 <label_0C45>:
	s_cmp_lt_i32 s84, 0xc0                                     // 000000006EF0: BF04FF54 000000C0
	s_cbranch_scc0 label_0CBE                                  // 000000006EF8: BF84006D
	s_cmp_le_i32 s84, 64                                       // 000000006EFC: BF05C054
	s_cbranch_scc1 label_0C51                                  // 000000006F00: BF850007
	s_cmp_le_i32 s84, 0x80                                     // 000000006F04: BF05FF54 00000080
	s_cbranch_scc1 label_0C75                                  // 000000006F0C: BF85001F
	s_cmp_lt_i32 s84, 0xc0                                     // 000000006F10: BF04FF54 000000C0
	s_cbranch_scc1 label_0C99                                  // 000000006F18: BF850040
	s_branch label_0CBE                                        // 000000006F1C: BF820064

0000000000006f20 <label_0C51>:
	s_mov_b32 s60, 0                                           // 000000006F20: BEBC0080
	v_and_b32_e32 v32, 15, v0                                  // 000000006F24: 2640008F
	v_add_u32_e64 v32, v32, s60                                // 000000006F28: D1340020 00007920
	v_mul_i32_i24_e64 v33, s46, 16                             // 000000006F30: D1060021 0001202E
	v_add_u32_e32 v32, v32, v33                                // 000000006F38: 68404320
	v_cmp_lt_u32_e64 s[60:61], v32, s84                        // 000000006F3C: D0C9003C 0000A920
	s_nop 1                                                    // 000000006F44: BF800001
	v_cndmask_b32_e64 v52, v178, v52, s[60:61]                 // 000000006F48: D1000034 00F269B2
	v_cndmask_b32_e64 v64, v178, v64, s[60:61]                 // 000000006F50: D1000040 00F281B2
	v_cndmask_b32_e64 v53, v178, v53, s[60:61]                 // 000000006F58: D1000035 00F26BB2
	v_cndmask_b32_e64 v65, v178, v65, s[60:61]                 // 000000006F60: D1000041 00F283B2
	v_cndmask_b32_e64 v54, v178, v54, s[60:61]                 // 000000006F68: D1000036 00F26DB2
	v_cndmask_b32_e64 v66, v178, v66, s[60:61]                 // 000000006F70: D1000042 00F285B2
	v_cndmask_b32_e64 v55, v178, v55, s[60:61]                 // 000000006F78: D1000037 00F26FB2
	v_cndmask_b32_e64 v67, v178, v67, s[60:61]                 // 000000006F80: D1000043 00F287B2
	s_branch label_0C90                                        // 000000006F88: BF82001B

0000000000006f8c <label_0C75>:
	s_mov_b32 s60, 64                                          // 000000006F8C: BEBC00C0
	v_and_b32_e32 v32, 15, v0                                  // 000000006F90: 2640008F
	v_add_u32_e64 v32, v32, s60                                // 000000006F94: D1340020 00007920
	v_mul_i32_i24_e64 v33, s46, 16                             // 000000006F9C: D1060021 0001202E
	v_add_u32_e32 v32, v32, v33                                // 000000006FA4: 68404320
	v_cmp_lt_u32_e64 s[60:61], v32, s84                        // 000000006FA8: D0C9003C 0000A920
	s_nop 1                                                    // 000000006FB0: BF800001
	v_cndmask_b32_e64 v56, v178, v56, s[60:61]                 // 000000006FB4: D1000038 00F271B2
	v_cndmask_b32_e64 v68, v178, v68, s[60:61]                 // 000000006FBC: D1000044 00F289B2
	v_cndmask_b32_e64 v57, v178, v57, s[60:61]                 // 000000006FC4: D1000039 00F273B2
	v_cndmask_b32_e64 v69, v178, v69, s[60:61]                 // 000000006FCC: D1000045 00F28BB2
	v_cndmask_b32_e64 v58, v178, v58, s[60:61]                 // 000000006FD4: D100003A 00F275B2
	v_cndmask_b32_e64 v70, v178, v70, s[60:61]                 // 000000006FDC: D1000046 00F28DB2
	v_cndmask_b32_e64 v59, v178, v59, s[60:61]                 // 000000006FE4: D100003B 00F277B2
	v_cndmask_b32_e64 v71, v178, v71, s[60:61]                 // 000000006FEC: D1000047 00F28FB2
	s_branch label_0CB5                                        // 000000006FF4: BF820025

0000000000006ff8 <label_0C90>:
	v_mov_b32_e32 v56, v178                                    // 000000006FF8: 7E7003B2
	v_mov_b32_e32 v68, v178                                    // 000000006FFC: 7E8803B2
	v_mov_b32_e32 v57, v178                                    // 000000007000: 7E7203B2
	v_mov_b32_e32 v69, v178                                    // 000000007004: 7E8A03B2
	v_mov_b32_e32 v58, v178                                    // 000000007008: 7E7403B2
	v_mov_b32_e32 v70, v178                                    // 00000000700C: 7E8C03B2
	v_mov_b32_e32 v59, v178                                    // 000000007010: 7E7603B2
	v_mov_b32_e32 v71, v178                                    // 000000007014: 7E8E03B2
	s_branch label_0CB5                                        // 000000007018: BF82001C

000000000000701c <label_0C99>:
	s_mov_b32 s60, 0x80                                        // 00000000701C: BEBC00FF 00000080
	v_and_b32_e32 v32, 15, v0                                  // 000000007024: 2640008F
	v_add_u32_e64 v32, v32, s60                                // 000000007028: D1340020 00007920
	v_mul_i32_i24_e64 v33, s46, 16                             // 000000007030: D1060021 0001202E
	v_add_u32_e32 v32, v32, v33                                // 000000007038: 68404320
	v_cmp_lt_u32_e64 s[60:61], v32, s84                        // 00000000703C: D0C9003C 0000A920
	s_nop 1                                                    // 000000007044: BF800001
	v_cndmask_b32_e64 v60, v178, v60, s[60:61]                 // 000000007048: D100003C 00F279B2
	v_cndmask_b32_e64 v72, v178, v72, s[60:61]                 // 000000007050: D1000048 00F291B2
	v_cndmask_b32_e64 v61, v178, v61, s[60:61]                 // 000000007058: D100003D 00F27BB2
	v_cndmask_b32_e64 v73, v178, v73, s[60:61]                 // 000000007060: D1000049 00F293B2
	v_cndmask_b32_e64 v62, v178, v62, s[60:61]                 // 000000007068: D100003E 00F27DB2
	v_cndmask_b32_e64 v74, v178, v74, s[60:61]                 // 000000007070: D100004A 00F295B2
	v_cndmask_b32_e64 v63, v178, v63, s[60:61]                 // 000000007078: D100003F 00F27FB2
	v_cndmask_b32_e64 v75, v178, v75, s[60:61]                 // 000000007080: D100004B 00F297B2
	s_branch label_0CBE                                        // 000000007088: BF820009

000000000000708c <label_0CB5>:
	v_mov_b32_e32 v60, v178                                    // 00000000708C: 7E7803B2
	v_mov_b32_e32 v72, v178                                    // 000000007090: 7E9003B2
	v_mov_b32_e32 v61, v178                                    // 000000007094: 7E7A03B2
	v_mov_b32_e32 v73, v178                                    // 000000007098: 7E9203B2
	v_mov_b32_e32 v62, v178                                    // 00000000709C: 7E7C03B2
	v_mov_b32_e32 v74, v178                                    // 0000000070A0: 7E9403B2
	v_mov_b32_e32 v63, v178                                    // 0000000070A4: 7E7E03B2
	v_mov_b32_e32 v75, v178                                    // 0000000070A8: 7E9603B2
	s_branch label_0CBE                                        // 0000000070AC: BF820000

00000000000070b0 <label_0CBE>:
	s_addk_i32 s74, 0x1                                        // 0000000070B0: B74A0001
	s_waitcnt lgkmcnt(8)                                       // 0000000070B4: BF8CC87F
	s_barrier                                                  // 0000000070B8: BF8A0000
	v_mfma_f32_16x16x16_bf16 v[76:79], v[108:109], a[72:73], 0 // 0000000070BC: D3E1004C 1202916C
	ds_read_b128 a[96:99], v14 offset:4352                     // 0000000070C4: DBFE1100 6000000E
	ds_read_b128 a[100:103], v14 offset:4864                   // 0000000070CC: DBFE1300 6400000E
	v_mfma_f32_16x16x16_bf16 v[76:79], v[110:111], a[74:75], v[76:79]// 0000000070D4: D3E1004C 1532956E
	v_fma_f32 v52, v52, s57, -v140                             // 0000000070DC: D1CB0034 86307334
	v_fma_f32 v53, v53, s57, -v141                             // 0000000070E4: D1CB0035 86347335
	v_fma_f32 v54, v54, s57, -v142                             // 0000000070EC: D1CB0036 86387336
	v_fma_f32 v55, v55, s57, -v143                             // 0000000070F4: D1CB0037 863C7337
	v_fma_f32 v56, v56, s57, -v140                             // 0000000070FC: D1CB0038 86307338
	v_fma_f32 v57, v57, s57, -v141                             // 000000007104: D1CB0039 86347339
	v_mfma_f32_16x16x16_bf16 v[76:79], v[112:113], a[76:77], v[76:79]// 00000000710C: D3E1004C 15329970
	v_fma_f32 v58, v58, s57, -v142                             // 000000007114: D1CB003A 8638733A
	v_fma_f32 v59, v59, s57, -v143                             // 00000000711C: D1CB003B 863C733B
	v_fma_f32 v60, v60, s57, -v140                             // 000000007124: D1CB003C 8630733C
	v_fma_f32 v61, v61, s57, -v141                             // 00000000712C: D1CB003D 8634733D
	v_fma_f32 v62, v62, s57, -v142                             // 000000007134: D1CB003E 8638733E
	v_fma_f32 v63, v63, s57, -v143                             // 00000000713C: D1CB003F 863C733F
	v_mfma_f32_16x16x16_bf16 v[76:79], v[114:115], a[78:79], v[76:79]// 000000007144: D3E1004C 15329D72
	v_fma_f32 v64, v64, s57, -v144                             // 00000000714C: D1CB0040 86407340
	v_fma_f32 v65, v65, s57, -v145                             // 000000007154: D1CB0041 86447341
	v_fma_f32 v66, v66, s57, -v146                             // 00000000715C: D1CB0042 86487342
	v_fma_f32 v67, v67, s57, -v147                             // 000000007164: D1CB0043 864C7343
	v_fma_f32 v68, v68, s57, -v144                             // 00000000716C: D1CB0044 86407344
	v_fma_f32 v69, v69, s57, -v145                             // 000000007174: D1CB0045 86447345
	v_mfma_f32_16x16x16_bf16 v[80:83], v[108:109], a[80:81], 0 // 00000000717C: D3E10050 1202A16C
	ds_read_b128 a[104:107], v14 offset:6528                   // 000000007184: DBFE1980 6800000E
	ds_read_b128 a[108:111], v14 offset:7040                   // 00000000718C: DBFE1B80 6C00000E
	v_mfma_f32_16x16x16_bf16 v[80:83], v[110:111], a[82:83], v[80:83]// 000000007194: D3E10050 1542A56E
	v_fma_f32 v70, v70, s57, -v146                             // 00000000719C: D1CB0046 86487346
	v_fma_f32 v71, v71, s57, -v147                             // 0000000071A4: D1CB0047 864C7347
	v_fma_f32 v72, v72, s57, -v144                             // 0000000071AC: D1CB0048 86407348
	v_fma_f32 v73, v73, s57, -v145                             // 0000000071B4: D1CB0049 86447349
	v_fma_f32 v74, v74, s57, -v146                             // 0000000071BC: D1CB004A 8648734A
	v_fma_f32 v75, v75, s57, -v147                             // 0000000071C4: D1CB004B 864C734B
	v_mfma_f32_16x16x16_bf16 v[80:83], v[112:113], a[84:85], v[80:83]// 0000000071CC: D3E10050 1542A970
	v_exp_f32_e32 v52, v52                                     // 0000000071D4: 7E684134
	v_exp_f32_e32 v53, v53                                     // 0000000071D8: 7E6A4135
	v_mfma_f32_16x16x16_bf16 v[80:83], v[114:115], a[86:87], v[80:83]// 0000000071DC: D3E10050 1542AD72
	v_exp_f32_e32 v54, v54                                     // 0000000071E4: 7E6C4136
	v_exp_f32_e32 v55, v55                                     // 0000000071E8: 7E6E4137
	v_mfma_f32_16x16x16_bf16 v[84:87], v[108:109], a[88:89], 0 // 0000000071EC: D3E10054 1202B16C
	ds_read_b64 v[156:157], v21 offset:31232                   // 0000000071F4: D8EC7A00 9C000015
	ds_read_b64 v[158:159], v21 offset:33280                   // 0000000071FC: D8EC8200 9E000015
	v_mfma_f32_16x16x16_bf16 v[84:87], v[110:111], a[90:91], v[84:87]// 000000007204: D3E10054 1552B56E
	v_exp_f32_e32 v56, v56                                     // 00000000720C: 7E704138
	v_exp_f32_e32 v57, v57                                     // 000000007210: 7E724139
	v_mfma_f32_16x16x16_bf16 v[84:87], v[112:113], a[92:93], v[84:87]// 000000007214: D3E10054 1552B970
	ds_read_b64 v[160:161], v21 offset:35328                   // 00000000721C: D8EC8A00 A0000015
	ds_read_b64 v[162:163], v21 offset:37376                   // 000000007224: D8EC9200 A2000015
	v_mfma_f32_16x16x16_bf16 v[84:87], v[114:115], a[94:95], v[84:87]// 00000000722C: D3E10054 1552BD72
	v_exp_f32_e32 v58, v58                                     // 000000007234: 7E74413A
	v_exp_f32_e32 v59, v59                                     // 000000007238: 7E76413B
	v_mfma_f32_16x16x16_bf16 v[88:91], v[116:117], a[72:73], 0 // 00000000723C: D3E10058 12029174
	v_exp_f32_e32 v60, v60                                     // 000000007244: 7E78413C
	v_exp_f32_e32 v61, v61                                     // 000000007248: 7E7A413D
	v_mfma_f32_16x16x16_bf16 v[88:91], v[118:119], a[74:75], v[88:91]// 00000000724C: D3E10058 15629576
	v_exp_f32_e32 v62, v62                                     // 000000007254: 7E7C413E
	v_exp_f32_e32 v63, v63                                     // 000000007258: 7E7E413F
	v_mfma_f32_16x16x16_bf16 v[88:91], v[120:121], a[76:77], v[88:91]// 00000000725C: D3E10058 15629978
	v_exp_f32_e32 v64, v64                                     // 000000007264: 7E804140
	v_exp_f32_e32 v65, v65                                     // 000000007268: 7E824141
	v_mfma_f32_16x16x16_bf16 v[88:91], v[122:123], a[78:79], v[88:91]// 00000000726C: D3E10058 15629D7A
	v_exp_f32_e32 v66, v66                                     // 000000007274: 7E844142
	v_exp_f32_e32 v67, v67                                     // 000000007278: 7E864143
	v_mfma_f32_16x16x16_bf16 v[92:95], v[116:117], a[80:81], 0 // 00000000727C: D3E1005C 1202A174
	v_exp_f32_e32 v68, v68                                     // 000000007284: 7E884144
	v_exp_f32_e32 v69, v69                                     // 000000007288: 7E8A4145
	v_mfma_f32_16x16x16_bf16 v[92:95], v[118:119], a[82:83], v[92:95]// 00000000728C: D3E1005C 1572A576
	v_exp_f32_e32 v70, v70                                     // 000000007294: 7E8C4146
	v_exp_f32_e32 v71, v71                                     // 000000007298: 7E8E4147
	v_mfma_f32_16x16x16_bf16 v[92:95], v[120:121], a[84:85], v[92:95]// 00000000729C: D3E1005C 1572A978
	v_exp_f32_e32 v72, v72                                     // 0000000072A4: 7E904148
	v_exp_f32_e32 v73, v73                                     // 0000000072A8: 7E924149
	v_mfma_f32_16x16x16_bf16 v[92:95], v[122:123], a[86:87], v[92:95]// 0000000072AC: D3E1005C 1572AD7A
	v_exp_f32_e32 v74, v74                                     // 0000000072B4: 7E94414A
	v_exp_f32_e32 v75, v75                                     // 0000000072B8: 7E96414B
	v_mfma_f32_16x16x16_bf16 v[96:99], v[116:117], a[88:89], 0 // 0000000072BC: D3E10060 1202B174
	v_cmp_u_f32_e64 s[78:79], v52, v52                         // 0000000072C4: D048004E 00026934
	v_add3_u32 v228, v52, v231, 1                              // 0000000072CC: D1FF00E4 0207CF34
	v_cndmask_b32_e64 v32, v228, v230, s[78:79]                // 0000000072D4: D1000020 013BCDE4
	v_cmp_u_f32_e64 s[78:79], v53, v53                         // 0000000072DC: D048004E 00026B35
	v_add3_u32 v228, v53, v231, 1                              // 0000000072E4: D1FF00E4 0207CF35
	v_cndmask_b32_e64 v33, v228, v230, s[78:79]                // 0000000072EC: D1000021 013BCDE4
	v_perm_b32 v164, v33, v32, s64                             // 0000000072F4: D1ED00A4 01024121
	v_cmp_u_f32_e64 s[78:79], v54, v54                         // 0000000072FC: D048004E 00026D36
	v_add3_u32 v228, v54, v231, 1                              // 000000007304: D1FF00E4 0207CF36
	v_cndmask_b32_e64 v32, v228, v230, s[78:79]                // 00000000730C: D1000020 013BCDE4
	v_cmp_u_f32_e64 s[78:79], v55, v55                         // 000000007314: D048004E 00026F37
	v_add3_u32 v228, v55, v231, 1                              // 00000000731C: D1FF00E4 0207CF37
	v_cndmask_b32_e64 v33, v228, v230, s[78:79]                // 000000007324: D1000021 013BCDE4
	v_perm_b32 v165, v33, v32, s64                             // 00000000732C: D1ED00A5 01024121
	v_cmp_u_f32_e64 s[78:79], v56, v56                         // 000000007334: D048004E 00027138
	v_add3_u32 v228, v56, v231, 1                              // 00000000733C: D1FF00E4 0207CF38
	v_cndmask_b32_e64 v32, v228, v230, s[78:79]                // 000000007344: D1000020 013BCDE4
	v_cmp_u_f32_e64 s[78:79], v57, v57                         // 00000000734C: D048004E 00027339
	v_add3_u32 v228, v57, v231, 1                              // 000000007354: D1FF00E4 0207CF39
	v_cndmask_b32_e64 v33, v228, v230, s[78:79]                // 00000000735C: D1000021 013BCDE4
	v_perm_b32 v166, v33, v32, s64                             // 000000007364: D1ED00A6 01024121
	v_cmp_u_f32_e64 s[78:79], v58, v58                         // 00000000736C: D048004E 0002753A
	v_add3_u32 v228, v58, v231, 1                              // 000000007374: D1FF00E4 0207CF3A
	v_cndmask_b32_e64 v32, v228, v230, s[78:79]                // 00000000737C: D1000020 013BCDE4
	v_cmp_u_f32_e64 s[78:79], v59, v59                         // 000000007384: D048004E 0002773B
	v_add3_u32 v228, v59, v231, 1                              // 00000000738C: D1FF00E4 0207CF3B
	v_cndmask_b32_e64 v33, v228, v230, s[78:79]                // 000000007394: D1000021 013BCDE4
	v_perm_b32 v167, v33, v32, s64                             // 00000000739C: D1ED00A7 01024121
	v_cmp_u_f32_e64 s[78:79], v60, v60                         // 0000000073A4: D048004E 0002793C
	v_add3_u32 v228, v60, v231, 1                              // 0000000073AC: D1FF00E4 0207CF3C
	v_cndmask_b32_e64 v32, v228, v230, s[78:79]                // 0000000073B4: D1000020 013BCDE4
	v_cmp_u_f32_e64 s[78:79], v61, v61                         // 0000000073BC: D048004E 00027B3D
	v_add3_u32 v228, v61, v231, 1                              // 0000000073C4: D1FF00E4 0207CF3D
	v_cndmask_b32_e64 v33, v228, v230, s[78:79]                // 0000000073CC: D1000021 013BCDE4
	v_perm_b32 v168, v33, v32, s64                             // 0000000073D4: D1ED00A8 01024121
	v_cmp_u_f32_e64 s[78:79], v62, v62                         // 0000000073DC: D048004E 00027D3E
	v_add3_u32 v228, v62, v231, 1                              // 0000000073E4: D1FF00E4 0207CF3E
	v_cndmask_b32_e64 v32, v228, v230, s[78:79]                // 0000000073EC: D1000020 013BCDE4
	v_cmp_u_f32_e64 s[78:79], v63, v63                         // 0000000073F4: D048004E 00027F3F
	v_add3_u32 v228, v63, v231, 1                              // 0000000073FC: D1FF00E4 0207CF3F
	v_cndmask_b32_e64 v33, v228, v230, s[78:79]                // 000000007404: D1000021 013BCDE4
	v_perm_b32 v169, v33, v32, s64                             // 00000000740C: D1ED00A9 01024121
	v_mfma_f32_16x16x16_bf16 v[96:99], v[118:119], a[90:91], v[96:99]// 000000007414: D3E10060 1582B576
	v_cmp_u_f32_e64 s[78:79], v64, v64                         // 00000000741C: D048004E 00028140
	v_add3_u32 v228, v64, v231, 1                              // 000000007424: D1FF00E4 0207CF40
	v_cndmask_b32_e64 v32, v228, v230, s[78:79]                // 00000000742C: D1000020 013BCDE4
	v_cmp_u_f32_e64 s[78:79], v65, v65                         // 000000007434: D048004E 00028341
	v_add3_u32 v228, v65, v231, 1                              // 00000000743C: D1FF00E4 0207CF41
	v_cndmask_b32_e64 v33, v228, v230, s[78:79]                // 000000007444: D1000021 013BCDE4
	v_perm_b32 v170, v33, v32, s64                             // 00000000744C: D1ED00AA 01024121
	v_cmp_u_f32_e64 s[78:79], v66, v66                         // 000000007454: D048004E 00028542
	v_add3_u32 v228, v66, v231, 1                              // 00000000745C: D1FF00E4 0207CF42
	v_cndmask_b32_e64 v32, v228, v230, s[78:79]                // 000000007464: D1000020 013BCDE4
	v_cmp_u_f32_e64 s[78:79], v67, v67                         // 00000000746C: D048004E 00028743
	v_add3_u32 v228, v67, v231, 1                              // 000000007474: D1FF00E4 0207CF43
	v_cndmask_b32_e64 v33, v228, v230, s[78:79]                // 00000000747C: D1000021 013BCDE4
	v_perm_b32 v171, v33, v32, s64                             // 000000007484: D1ED00AB 01024121
	v_cmp_u_f32_e64 s[78:79], v68, v68                         // 00000000748C: D048004E 00028944
	v_add3_u32 v228, v68, v231, 1                              // 000000007494: D1FF00E4 0207CF44
	v_cndmask_b32_e64 v32, v228, v230, s[78:79]                // 00000000749C: D1000020 013BCDE4
	v_cmp_u_f32_e64 s[78:79], v69, v69                         // 0000000074A4: D048004E 00028B45
	v_add3_u32 v228, v69, v231, 1                              // 0000000074AC: D1FF00E4 0207CF45
	v_cndmask_b32_e64 v33, v228, v230, s[78:79]                // 0000000074B4: D1000021 013BCDE4
	v_perm_b32 v172, v33, v32, s64                             // 0000000074BC: D1ED00AC 01024121
	v_cmp_u_f32_e64 s[78:79], v70, v70                         // 0000000074C4: D048004E 00028D46
	v_add3_u32 v228, v70, v231, 1                              // 0000000074CC: D1FF00E4 0207CF46
	v_cndmask_b32_e64 v32, v228, v230, s[78:79]                // 0000000074D4: D1000020 013BCDE4
	v_cmp_u_f32_e64 s[78:79], v71, v71                         // 0000000074DC: D048004E 00028F47
	v_add3_u32 v228, v71, v231, 1                              // 0000000074E4: D1FF00E4 0207CF47
	v_cndmask_b32_e64 v33, v228, v230, s[78:79]                // 0000000074EC: D1000021 013BCDE4
	v_perm_b32 v173, v33, v32, s64                             // 0000000074F4: D1ED00AD 01024121
	v_cmp_u_f32_e64 s[78:79], v72, v72                         // 0000000074FC: D048004E 00029148
	v_add3_u32 v228, v72, v231, 1                              // 000000007504: D1FF00E4 0207CF48
	v_cndmask_b32_e64 v32, v228, v230, s[78:79]                // 00000000750C: D1000020 013BCDE4
	v_cmp_u_f32_e64 s[78:79], v73, v73                         // 000000007514: D048004E 00029349
	v_add3_u32 v228, v73, v231, 1                              // 00000000751C: D1FF00E4 0207CF49
	v_cndmask_b32_e64 v33, v228, v230, s[78:79]                // 000000007524: D1000021 013BCDE4
	v_perm_b32 v174, v33, v32, s64                             // 00000000752C: D1ED00AE 01024121
	v_cmp_u_f32_e64 s[78:79], v74, v74                         // 000000007534: D048004E 0002954A
	v_add3_u32 v228, v74, v231, 1                              // 00000000753C: D1FF00E4 0207CF4A
	v_cndmask_b32_e64 v32, v228, v230, s[78:79]                // 000000007544: D1000020 013BCDE4
	v_cmp_u_f32_e64 s[78:79], v75, v75                         // 00000000754C: D048004E 0002974B
	v_add3_u32 v228, v75, v231, 1                              // 000000007554: D1FF00E4 0207CF4B
	v_cndmask_b32_e64 v33, v228, v230, s[78:79]                // 00000000755C: D1000021 013BCDE4
	v_perm_b32 v175, v33, v32, s64                             // 000000007564: D1ED00AF 01024121
	v_mfma_f32_16x16x16_bf16 v[96:99], v[120:121], a[92:93], v[96:99]// 00000000756C: D3E10060 1582B978
	v_add_u32_e32 v6, s66, v6                                  // 000000007574: 680C0C42
	v_add_u32_e32 v7, s66, v7                                  // 000000007578: 680E0E42
	v_add_u32_e32 v8, s66, v8                                  // 00000000757C: 68101042
	v_add_u32_e32 v9, s66, v9                                  // 000000007580: 68121242
	v_mfma_f32_16x16x16_bf16 v[96:99], v[122:123], a[94:95], v[96:99]// 000000007584: D3E10060 1582BD7A
	s_waitcnt lgkmcnt(0)                                       // 00000000758C: BF8CC07F
	s_barrier                                                  // 000000007590: BF8A0000
	v_mfma_f32_16x16x16_bf16 v[180:183], v[124:125], v[164:165], v[180:183]// 000000007594: D3E100B4 06D3497C
	v_subrev_f32_dpp v76, v176, v76 quad_perm:[0,0,0,0] row_mask:0xf bank_mask:0xf// 00000000759C: 069898FA FF0000B0
	v_subrev_f32_dpp v77, v176, v77 quad_perm:[1,1,1,1] row_mask:0xf bank_mask:0xf// 0000000075A4: 069A9AFA FF0055B0
	v_subrev_f32_dpp v78, v176, v78 quad_perm:[2,2,2,2] row_mask:0xf bank_mask:0xf// 0000000075AC: 069C9CFA FF00AAB0
	v_subrev_f32_dpp v79, v176, v79 quad_perm:[3,3,3,3] row_mask:0xf bank_mask:0xf// 0000000075B4: 069E9EFA FF00FFB0
	v_subrev_f32_dpp v80, v176, v80 quad_perm:[0,0,0,0] row_mask:0xf bank_mask:0xf// 0000000075BC: 06A0A0FA FF0000B0
	v_subrev_f32_dpp v81, v176, v81 quad_perm:[1,1,1,1] row_mask:0xf bank_mask:0xf// 0000000075C4: 06A2A2FA FF0055B0
	v_mfma_f32_16x16x16_bf16 v[184:187], v[126:127], v[164:165], v[184:187]// 0000000075CC: D3E100B8 06E3497E
	v_subrev_f32_dpp v82, v176, v82 quad_perm:[2,2,2,2] row_mask:0xf bank_mask:0xf// 0000000075D4: 06A4A4FA FF00AAB0
	v_subrev_f32_dpp v83, v176, v83 quad_perm:[3,3,3,3] row_mask:0xf bank_mask:0xf// 0000000075DC: 06A6A6FA FF00FFB0
	v_subrev_f32_dpp v84, v176, v84 quad_perm:[0,0,0,0] row_mask:0xf bank_mask:0xf// 0000000075E4: 06A8A8FA FF0000B0
	v_subrev_f32_dpp v85, v176, v85 quad_perm:[1,1,1,1] row_mask:0xf bank_mask:0xf// 0000000075EC: 06AAAAFA FF0055B0
	v_subrev_f32_dpp v86, v176, v86 quad_perm:[2,2,2,2] row_mask:0xf bank_mask:0xf// 0000000075F4: 06ACACFA FF00AAB0
	v_subrev_f32_dpp v87, v176, v87 quad_perm:[3,3,3,3] row_mask:0xf bank_mask:0xf// 0000000075FC: 06AEAEFA FF00FFB0
	v_mfma_f32_16x16x16_bf16 v[188:191], v[128:129], v[164:165], v[188:191]// 000000007604: D3E100BC 06F34980
	v_mul_f32_e32 v76, v52, v76                                // 00000000760C: 0A989934
	v_mul_f32_e32 v77, v53, v77                                // 000000007610: 0A9A9B35
	v_mul_f32_e32 v78, v54, v78                                // 000000007614: 0A9C9D36
	v_mul_f32_e32 v79, v55, v79                                // 000000007618: 0A9E9F37
	v_mul_f32_e32 v80, v56, v80                                // 00000000761C: 0AA0A138
	v_mul_f32_e32 v81, v57, v81                                // 000000007620: 0AA2A339
	v_mfma_f32_16x16x16_bf16 v[192:195], v[130:131], v[164:165], v[192:195]// 000000007624: D3E100C0 07034982
	v_mul_f32_e32 v82, v58, v82                                // 00000000762C: 0AA4A53A
	v_mul_f32_e32 v83, v59, v83                                // 000000007630: 0AA6A73B
	v_mul_f32_e32 v84, v60, v84                                // 000000007634: 0AA8A93C
	v_mul_f32_e32 v85, v61, v85                                // 000000007638: 0AAAAB3D
	v_mul_f32_e32 v86, v62, v86                                // 00000000763C: 0AACAD3E
	v_mul_f32_e32 v87, v63, v87                                // 000000007640: 0AAEAF3F
	v_mfma_f32_16x16x16_bf16 v[196:199], v[124:125], v[166:167], v[196:199]// 000000007644: D3E100C4 07134D7C
	v_cmp_u_f32_e64 s[78:79], v76, v76                         // 00000000764C: D048004E 0002994C
	v_add3_u32 v228, v76, v231, 1                              // 000000007654: D1FF00E4 0207CF4C
	v_cndmask_b32_e64 v32, v228, v230, s[78:79]                // 00000000765C: D1000020 013BCDE4
	v_cmp_u_f32_e64 s[78:79], v77, v77                         // 000000007664: D048004E 00029B4D
	v_add3_u32 v228, v77, v231, 1                              // 00000000766C: D1FF00E4 0207CF4D
	v_cndmask_b32_e64 v33, v228, v230, s[78:79]                // 000000007674: D1000021 013BCDE4
	v_perm_b32 v76, v33, v32, s64                              // 00000000767C: D1ED004C 01024121
	v_cmp_u_f32_e64 s[78:79], v78, v78                         // 000000007684: D048004E 00029D4E
	v_add3_u32 v228, v78, v231, 1                              // 00000000768C: D1FF00E4 0207CF4E
	v_cndmask_b32_e64 v32, v228, v230, s[78:79]                // 000000007694: D1000020 013BCDE4
	v_cmp_u_f32_e64 s[78:79], v79, v79                         // 00000000769C: D048004E 00029F4F
	v_add3_u32 v228, v79, v231, 1                              // 0000000076A4: D1FF00E4 0207CF4F
	v_cndmask_b32_e64 v33, v228, v230, s[78:79]                // 0000000076AC: D1000021 013BCDE4
	v_perm_b32 v77, v33, v32, s64                              // 0000000076B4: D1ED004D 01024121
	v_cmp_u_f32_e64 s[78:79], v80, v80                         // 0000000076BC: D048004E 0002A150
	v_add3_u32 v228, v80, v231, 1                              // 0000000076C4: D1FF00E4 0207CF50
	v_cndmask_b32_e64 v32, v228, v230, s[78:79]                // 0000000076CC: D1000020 013BCDE4
	v_cmp_u_f32_e64 s[78:79], v81, v81                         // 0000000076D4: D048004E 0002A351
	v_add3_u32 v228, v81, v231, 1                              // 0000000076DC: D1FF00E4 0207CF51
	v_cndmask_b32_e64 v33, v228, v230, s[78:79]                // 0000000076E4: D1000021 013BCDE4
	v_perm_b32 v78, v33, v32, s64                              // 0000000076EC: D1ED004E 01024121
	v_cmp_u_f32_e64 s[78:79], v82, v82                         // 0000000076F4: D048004E 0002A552
	v_add3_u32 v228, v82, v231, 1                              // 0000000076FC: D1FF00E4 0207CF52
	v_cndmask_b32_e64 v32, v228, v230, s[78:79]                // 000000007704: D1000020 013BCDE4
	v_cmp_u_f32_e64 s[78:79], v83, v83                         // 00000000770C: D048004E 0002A753
	v_add3_u32 v228, v83, v231, 1                              // 000000007714: D1FF00E4 0207CF53
	v_cndmask_b32_e64 v33, v228, v230, s[78:79]                // 00000000771C: D1000021 013BCDE4
	v_perm_b32 v79, v33, v32, s64                              // 000000007724: D1ED004F 01024121
	v_cmp_u_f32_e64 s[78:79], v84, v84                         // 00000000772C: D048004E 0002A954
	v_add3_u32 v228, v84, v231, 1                              // 000000007734: D1FF00E4 0207CF54
	v_cndmask_b32_e64 v32, v228, v230, s[78:79]                // 00000000773C: D1000020 013BCDE4
	v_cmp_u_f32_e64 s[78:79], v85, v85                         // 000000007744: D048004E 0002AB55
	v_add3_u32 v228, v85, v231, 1                              // 00000000774C: D1FF00E4 0207CF55
	v_cndmask_b32_e64 v33, v228, v230, s[78:79]                // 000000007754: D1000021 013BCDE4
	v_perm_b32 v80, v33, v32, s64                              // 00000000775C: D1ED0050 01024121
	v_cmp_u_f32_e64 s[78:79], v86, v86                         // 000000007764: D048004E 0002AD56
	v_add3_u32 v228, v86, v231, 1                              // 00000000776C: D1FF00E4 0207CF56
	v_cndmask_b32_e64 v32, v228, v230, s[78:79]                // 000000007774: D1000020 013BCDE4
	v_cmp_u_f32_e64 s[78:79], v87, v87                         // 00000000777C: D048004E 0002AF57
	v_add3_u32 v228, v87, v231, 1                              // 000000007784: D1FF00E4 0207CF57
	v_cndmask_b32_e64 v33, v228, v230, s[78:79]                // 00000000778C: D1000021 013BCDE4
	v_perm_b32 v81, v33, v32, s64                              // 000000007794: D1ED0051 01024121
	v_mfma_f32_16x16x16_bf16 v[200:203], v[126:127], v[166:167], v[200:203]// 00000000779C: D3E100C8 07234D7E
	v_mov_b32_dpp v18, v76 quad_perm:[1,0,3,2] row_mask:0xf bank_mask:0xf// 0000000077A4: 7E2402FA FF00B14C
	v_perm_b32 v52, v18, v76, v17                              // 0000000077AC: D1ED0034 04469912
	v_mov_b32_dpp v18, v77 quad_perm:[1,0,3,2] row_mask:0xf bank_mask:0xf// 0000000077B4: 7E2402FA FF00B14D
	v_perm_b32 v53, v18, v77, v17                              // 0000000077BC: D1ED0035 04469B12
	v_mov_b32_dpp v18, v78 quad_perm:[1,0,3,2] row_mask:0xf bank_mask:0xf// 0000000077C4: 7E2402FA FF00B14E
	v_perm_b32 v54, v18, v78, v17                              // 0000000077CC: D1ED0036 04469D12
	v_mfma_f32_16x16x16_bf16 v[204:207], v[128:129], v[166:167], v[204:207]// 0000000077D4: D3E100CC 07334D80
	v_mov_b32_dpp v18, v79 quad_perm:[1,0,3,2] row_mask:0xf bank_mask:0xf// 0000000077DC: 7E2402FA FF00B14F
	v_perm_b32 v55, v18, v79, v17                              // 0000000077E4: D1ED0037 04469F12
	v_mov_b32_dpp v18, v80 quad_perm:[1,0,3,2] row_mask:0xf bank_mask:0xf// 0000000077EC: 7E2402FA FF00B150
	v_perm_b32 v56, v18, v80, v17                              // 0000000077F4: D1ED0038 0446A112
	v_mov_b32_dpp v18, v81 quad_perm:[1,0,3,2] row_mask:0xf bank_mask:0xf// 0000000077FC: 7E2402FA FF00B151
	v_perm_b32 v57, v18, v81, v17                              // 000000007804: D1ED0039 0446A312
	v_mfma_f32_16x16x16_bf16 v[208:211], v[130:131], v[166:167], v[208:211]// 00000000780C: D3E100D0 07434D82
	ds_write_b32 v20, v52 offset:17408                         // 000000007814: D81A4400 00003414
	ds_write_b32 v20, v53 offset:17952                         // 00000000781C: D81A4620 00003514
	v_mfma_f32_16x16x16_bf16 v[212:215], v[124:125], v[168:169], v[212:215]// 000000007824: D3E100D4 0753517C
	v_subrev_f32_dpp v88, v177, v88 quad_perm:[0,0,0,0] row_mask:0xf bank_mask:0xf// 00000000782C: 06B0B0FA FF0000B1
	v_subrev_f32_dpp v89, v177, v89 quad_perm:[1,1,1,1] row_mask:0xf bank_mask:0xf// 000000007834: 06B2B2FA FF0055B1
	v_subrev_f32_dpp v90, v177, v90 quad_perm:[2,2,2,2] row_mask:0xf bank_mask:0xf// 00000000783C: 06B4B4FA FF00AAB1
	v_subrev_f32_dpp v91, v177, v91 quad_perm:[3,3,3,3] row_mask:0xf bank_mask:0xf// 000000007844: 06B6B6FA FF00FFB1
	v_subrev_f32_dpp v92, v177, v92 quad_perm:[0,0,0,0] row_mask:0xf bank_mask:0xf// 00000000784C: 06B8B8FA FF0000B1
	v_subrev_f32_dpp v93, v177, v93 quad_perm:[1,1,1,1] row_mask:0xf bank_mask:0xf// 000000007854: 06BABAFA FF0055B1
	v_mfma_f32_16x16x16_bf16 v[216:219], v[126:127], v[168:169], v[216:219]// 00000000785C: D3E100D8 0763517E
	ds_write_b32 v20, v54 offset:19712                         // 000000007864: D81A4D00 00003614
	ds_write_b32 v20, v55 offset:20256                         // 00000000786C: D81A4F20 00003714
	v_mfma_f32_16x16x16_bf16 v[220:223], v[128:129], v[168:169], v[220:223]// 000000007874: D3E100DC 07735180
	v_subrev_f32_dpp v94, v177, v94 quad_perm:[2,2,2,2] row_mask:0xf bank_mask:0xf// 00000000787C: 06BCBCFA FF00AAB1
	v_subrev_f32_dpp v95, v177, v95 quad_perm:[3,3,3,3] row_mask:0xf bank_mask:0xf// 000000007884: 06BEBEFA FF00FFB1
	v_subrev_f32_dpp v96, v177, v96 quad_perm:[0,0,0,0] row_mask:0xf bank_mask:0xf// 00000000788C: 06C0C0FA FF0000B1
	v_subrev_f32_dpp v97, v177, v97 quad_perm:[1,1,1,1] row_mask:0xf bank_mask:0xf// 000000007894: 06C2C2FA FF0055B1
	v_subrev_f32_dpp v98, v177, v98 quad_perm:[2,2,2,2] row_mask:0xf bank_mask:0xf// 00000000789C: 06C4C4FA FF00AAB1
	v_subrev_f32_dpp v99, v177, v99 quad_perm:[3,3,3,3] row_mask:0xf bank_mask:0xf// 0000000078A4: 06C6C6FA FF00FFB1
	v_mfma_f32_16x16x16_bf16 v[224:227], v[130:131], v[168:169], v[224:227]// 0000000078AC: D3E100E0 07835182
	ds_write_b32 v20, v56 offset:22016                         // 0000000078B4: D81A5600 00003814
	ds_write_b32 v20, v57 offset:22560                         // 0000000078BC: D81A5820 00003914
	v_mfma_f32_16x16x16_bf16 v[180:183], v[132:133], v[170:171], v[180:183]// 0000000078C4: D3E100B4 06D35584
	v_mul_f32_e32 v88, v64, v88                                // 0000000078CC: 0AB0B140
	v_mul_f32_e32 v89, v65, v89                                // 0000000078D0: 0AB2B341
	v_mul_f32_e32 v90, v66, v90                                // 0000000078D4: 0AB4B542
	v_mul_f32_e32 v91, v67, v91                                // 0000000078D8: 0AB6B743
	v_mul_f32_e32 v92, v68, v92                                // 0000000078DC: 0AB8B944
	v_mul_f32_e32 v93, v69, v93                                // 0000000078E0: 0ABABB45
	v_mfma_f32_16x16x16_bf16 v[184:187], v[134:135], v[170:171], v[184:187]// 0000000078E4: D3E100B8 06E35586
	v_mul_f32_e32 v94, v70, v94                                // 0000000078EC: 0ABCBD46
	v_mul_f32_e32 v95, v71, v95                                // 0000000078F0: 0ABEBF47
	v_mul_f32_e32 v96, v72, v96                                // 0000000078F4: 0AC0C148
	v_mul_f32_e32 v97, v73, v97                                // 0000000078F8: 0AC2C349
	v_mul_f32_e32 v98, v74, v98                                // 0000000078FC: 0AC4C54A
	v_mul_f32_e32 v99, v75, v99                                // 000000007900: 0AC6C74B
	v_mfma_f32_16x16x16_bf16 v[188:191], v[136:137], v[170:171], v[188:191]// 000000007904: D3E100BC 06F35588
	v_cmp_u_f32_e64 s[78:79], v88, v88                         // 00000000790C: D048004E 0002B158
	v_add3_u32 v228, v88, v231, 1                              // 000000007914: D1FF00E4 0207CF58
	v_cndmask_b32_e64 v32, v228, v230, s[78:79]                // 00000000791C: D1000020 013BCDE4
	v_cmp_u_f32_e64 s[78:79], v89, v89                         // 000000007924: D048004E 0002B359
	v_add3_u32 v228, v89, v231, 1                              // 00000000792C: D1FF00E4 0207CF59
	v_cndmask_b32_e64 v33, v228, v230, s[78:79]                // 000000007934: D1000021 013BCDE4
	v_perm_b32 v82, v33, v32, s64                              // 00000000793C: D1ED0052 01024121
	v_cmp_u_f32_e64 s[78:79], v90, v90                         // 000000007944: D048004E 0002B55A
	v_add3_u32 v228, v90, v231, 1                              // 00000000794C: D1FF00E4 0207CF5A
	v_cndmask_b32_e64 v32, v228, v230, s[78:79]                // 000000007954: D1000020 013BCDE4
	v_cmp_u_f32_e64 s[78:79], v91, v91                         // 00000000795C: D048004E 0002B75B
	v_add3_u32 v228, v91, v231, 1                              // 000000007964: D1FF00E4 0207CF5B
	v_cndmask_b32_e64 v33, v228, v230, s[78:79]                // 00000000796C: D1000021 013BCDE4
	v_perm_b32 v83, v33, v32, s64                              // 000000007974: D1ED0053 01024121
	v_cmp_u_f32_e64 s[78:79], v92, v92                         // 00000000797C: D048004E 0002B95C
	v_add3_u32 v228, v92, v231, 1                              // 000000007984: D1FF00E4 0207CF5C
	v_cndmask_b32_e64 v32, v228, v230, s[78:79]                // 00000000798C: D1000020 013BCDE4
	v_cmp_u_f32_e64 s[78:79], v93, v93                         // 000000007994: D048004E 0002BB5D
	v_add3_u32 v228, v93, v231, 1                              // 00000000799C: D1FF00E4 0207CF5D
	v_cndmask_b32_e64 v33, v228, v230, s[78:79]                // 0000000079A4: D1000021 013BCDE4
	v_perm_b32 v84, v33, v32, s64                              // 0000000079AC: D1ED0054 01024121
	v_cmp_u_f32_e64 s[78:79], v94, v94                         // 0000000079B4: D048004E 0002BD5E
	v_add3_u32 v228, v94, v231, 1                              // 0000000079BC: D1FF00E4 0207CF5E
	v_cndmask_b32_e64 v32, v228, v230, s[78:79]                // 0000000079C4: D1000020 013BCDE4
	v_cmp_u_f32_e64 s[78:79], v95, v95                         // 0000000079CC: D048004E 0002BF5F
	v_add3_u32 v228, v95, v231, 1                              // 0000000079D4: D1FF00E4 0207CF5F
	v_cndmask_b32_e64 v33, v228, v230, s[78:79]                // 0000000079DC: D1000021 013BCDE4
	v_perm_b32 v85, v33, v32, s64                              // 0000000079E4: D1ED0055 01024121
	v_cmp_u_f32_e64 s[78:79], v96, v96                         // 0000000079EC: D048004E 0002C160
	v_add3_u32 v228, v96, v231, 1                              // 0000000079F4: D1FF00E4 0207CF60
	v_cndmask_b32_e64 v32, v228, v230, s[78:79]                // 0000000079FC: D1000020 013BCDE4
	v_cmp_u_f32_e64 s[78:79], v97, v97                         // 000000007A04: D048004E 0002C361
	v_add3_u32 v228, v97, v231, 1                              // 000000007A0C: D1FF00E4 0207CF61
	v_cndmask_b32_e64 v33, v228, v230, s[78:79]                // 000000007A14: D1000021 013BCDE4
	v_perm_b32 v86, v33, v32, s64                              // 000000007A1C: D1ED0056 01024121
	v_cmp_u_f32_e64 s[78:79], v98, v98                         // 000000007A24: D048004E 0002C562
	v_add3_u32 v228, v98, v231, 1                              // 000000007A2C: D1FF00E4 0207CF62
	v_cndmask_b32_e64 v32, v228, v230, s[78:79]                // 000000007A34: D1000020 013BCDE4
	v_cmp_u_f32_e64 s[78:79], v99, v99                         // 000000007A3C: D048004E 0002C763
	v_add3_u32 v228, v99, v231, 1                              // 000000007A44: D1FF00E4 0207CF63
	v_cndmask_b32_e64 v33, v228, v230, s[78:79]                // 000000007A4C: D1000021 013BCDE4
	v_perm_b32 v87, v33, v32, s64                              // 000000007A54: D1ED0057 01024121
	v_mfma_f32_16x16x16_bf16 v[192:195], v[138:139], v[170:171], v[192:195]// 000000007A5C: D3E100C0 0703558A
	v_mov_b32_dpp v18, v82 quad_perm:[1,0,3,2] row_mask:0xf bank_mask:0xf// 000000007A64: 7E2402FA FF00B152
	v_perm_b32 v58, v18, v82, v17                              // 000000007A6C: D1ED003A 0446A512
	v_mov_b32_dpp v18, v83 quad_perm:[1,0,3,2] row_mask:0xf bank_mask:0xf// 000000007A74: 7E2402FA FF00B153
	v_perm_b32 v59, v18, v83, v17                              // 000000007A7C: D1ED003B 0446A712
	v_mov_b32_dpp v18, v84 quad_perm:[1,0,3,2] row_mask:0xf bank_mask:0xf// 000000007A84: 7E2402FA FF00B154
	v_perm_b32 v60, v18, v84, v17                              // 000000007A8C: D1ED003C 0446A912
	v_mfma_f32_16x16x16_bf16 v[196:199], v[132:133], v[172:173], v[196:199]// 000000007A94: D3E100C4 07135984
	v_mov_b32_dpp v18, v85 quad_perm:[1,0,3,2] row_mask:0xf bank_mask:0xf// 000000007A9C: 7E2402FA FF00B155
	v_perm_b32 v61, v18, v85, v17                              // 000000007AA4: D1ED003D 0446AB12
	v_mov_b32_dpp v18, v86 quad_perm:[1,0,3,2] row_mask:0xf bank_mask:0xf// 000000007AAC: 7E2402FA FF00B156
	v_perm_b32 v62, v18, v86, v17                              // 000000007AB4: D1ED003E 0446AD12
	v_mov_b32_dpp v18, v87 quad_perm:[1,0,3,2] row_mask:0xf bank_mask:0xf// 000000007ABC: 7E2402FA FF00B157
	v_perm_b32 v63, v18, v87, v17                              // 000000007AC4: D1ED003F 0446AF12
	v_mfma_f32_16x16x16_bf16 v[200:203], v[134:135], v[172:173], v[200:203]// 000000007ACC: D3E100C8 07235986
	ds_write_b32 v20, v58 offset:24320                         // 000000007AD4: D81A5F00 00003A14
	ds_write_b32 v20, v59 offset:24864                         // 000000007ADC: D81A6120 00003B14
	v_mfma_f32_16x16x16_bf16 v[204:207], v[136:137], v[172:173], v[204:207]// 000000007AE4: D3E100CC 07335988
	v_mfma_f32_16x16x16_bf16 v[208:211], v[138:139], v[172:173], v[208:211]// 000000007AEC: D3E100D0 0743598A
	ds_write_b32 v20, v60 offset:26624                         // 000000007AF4: D81A6800 00003C14
	ds_write_b32 v20, v61 offset:27168                         // 000000007AFC: D81A6A20 00003D14
	ds_write_b32 v20, v62 offset:28928                         // 000000007B04: D81A7100 00003E14
	ds_write_b32 v20, v63 offset:29472                         // 000000007B0C: D81A7320 00003F14
	v_mfma_f32_16x16x16_bf16 v[212:215], v[132:133], v[174:175], v[212:215]// 000000007B14: D3E100D4 07535D84
	v_mfma_f32_16x16x16_bf16 v[216:219], v[134:135], v[174:175], v[216:219]// 000000007B1C: D3E100D8 07635D86
	ds_write_b32 v15, v100 offset:4352                         // 000000007B24: D81A1100 0000640F
	ds_write_b32 v15, v101 offset:5408                         // 000000007B2C: D81A1520 0000650F
	v_mfma_f32_16x16x16_bf16 v[220:223], v[136:137], v[174:175], v[220:223]// 000000007B34: D3E100DC 07735D88
	s_nop 0                                                    // 000000007B3C: BF800000
	s_nop 0                                                    // 000000007B40: BF800000
	s_nop 0                                                    // 000000007B44: BF800000
	v_mfma_f32_16x16x16_bf16 v[224:227], v[138:139], v[174:175], v[224:227]// 000000007B48: D3E100E0 07835D8A
	ds_write_b32 v15, v102 offset:6528                         // 000000007B50: D81A1980 0000660F
	ds_write_b32 v15, v103 offset:7584                         // 000000007B58: D81A1DA0 0000670F
	s_barrier                                                  // 000000007B60: BF8A0000
	v_mfma_f32_16x16x16_bf16 a[112:115], a[96:97], v[76:77], a[112:115]// 000000007B64: D3E18070 0DC29960
	buffer_atomic_add_f32 v156, v6, s[32:35], 0 idxen          // 000000007B6C: E1342000 80089C06
	v_mfma_f32_16x16x16_bf16 a[116:119], a[98:99], v[76:77], a[116:119]// 000000007B74: D3E18074 0DD29962
	ds_read_b32 v140, v23 offset:39424                         // 000000007B7C: D86C9A00 8C000017
	ds_read_b32 v144, v23 offset:39488                         // 000000007B84: D86C9A40 90000017
	ds_read_b32 v176, v23 offset:39680                         // 000000007B8C: D86C9B00 B0000017
	ds_read_b32 v177, v23 offset:39744                         // 000000007B94: D86C9B40 B1000017
	v_mfma_f32_16x16x16_bf16 a[120:123], a[100:101], v[76:77], a[120:123]// 000000007B9C: D3E18078 0DE29964
	s_waitcnt lgkmcnt(8)                                       // 000000007BA4: BF8CC87F
	s_barrier                                                  // 000000007BA8: BF8A0000
	v_mfma_f32_16x16x16_bf16 a[124:127], a[102:103], v[76:77], a[124:127]// 000000007BAC: D3E1807C 0DF29966
	ds_read_b128 v[52:55], v19 offset:17408                    // 000000007BB4: D9FE4400 34000013
	v_mfma_f32_16x16x16_bf16 a[128:131], a[96:97], v[78:79], a[128:131]// 000000007BBC: D3E18080 0E029D60
	v_mfma_f32_16x16x16_bf16 a[132:135], a[98:99], v[78:79], a[132:135]// 000000007BC4: D3E18084 0E129D62
	ds_read_b128 v[56:59], v19 offset:18560                    // 000000007BCC: D9FE4880 38000013
	v_mfma_f32_16x16x16_bf16 a[136:139], a[100:101], v[78:79], a[136:139]// 000000007BD4: D3E18088 0E229D64
	buffer_atomic_add_f32 v157, v7, s[32:35], 0 idxen          // 000000007BDC: E1342000 80089D07
	v_mfma_f32_16x16x16_bf16 a[140:143], a[102:103], v[78:79], a[140:143]// 000000007BE4: D3E1808C 0E329D66
	ds_read_b128 v[60:63], v19 offset:19712                    // 000000007BEC: D9FE4D00 3C000013
	v_mfma_f32_16x16x16_bf16 a[144:147], a[96:97], v[80:81], a[144:147]// 000000007BF4: D3E18090 0E42A160
	v_mfma_f32_16x16x16_bf16 a[148:151], a[98:99], v[80:81], a[148:151]// 000000007BFC: D3E18094 0E52A162
	ds_read_b128 v[64:67], v19 offset:20864                    // 000000007C04: D9FE5180 40000013
	v_mfma_f32_16x16x16_bf16 a[152:155], a[100:101], v[80:81], a[152:155]// 000000007C0C: D3E18098 0E62A164
	v_mfma_f32_16x16x16_bf16 a[156:159], a[102:103], v[80:81], a[156:159]// 000000007C14: D3E1809C 0E72A166
	ds_read_b128 v[68:71], v19 offset:22016                    // 000000007C1C: D9FE5600 44000013
	v_mfma_f32_16x16x16_bf16 a[112:115], a[104:105], v[82:83], a[112:115]// 000000007C24: D3E18070 0DC2A568
	buffer_atomic_add_f32 v158, v6, s[32:35], 0 idxen offset:128// 000000007C2C: E1342080 80089E06
	v_mfma_f32_16x16x16_bf16 a[116:119], a[106:107], v[82:83], a[116:119]// 000000007C34: D3E18074 0DD2A56A
	ds_read_b128 v[72:75], v19 offset:23168                    // 000000007C3C: D9FE5A80 48000013
	v_mfma_f32_16x16x16_bf16 a[120:123], a[108:109], v[82:83], a[120:123]// 000000007C44: D3E18078 0DE2A56C
	v_mfma_f32_16x16x16_bf16 a[124:127], a[110:111], v[82:83], a[124:127]// 000000007C4C: D3E1807C 0DF2A56E
	ds_write_b32 v15, v104 offset:13056                        // 000000007C54: D81A3300 0000680F
	v_mfma_f32_16x16x16_bf16 a[128:131], a[104:105], v[84:85], a[128:131]// 000000007C5C: D3E18080 0E02A968
	v_mfma_f32_16x16x16_bf16 a[132:135], a[106:107], v[84:85], a[132:135]// 000000007C64: D3E18084 0E12A96A
	ds_write_b32 v15, v105 offset:14112                        // 000000007C6C: D81A3720 0000690F
	v_mfma_f32_16x16x16_bf16 a[136:139], a[108:109], v[84:85], a[136:139]// 000000007C74: D3E18088 0E22A96C
	buffer_atomic_add_f32 v159, v7, s[32:35], 0 idxen offset:128// 000000007C7C: E1342080 80089F07
	v_mfma_f32_16x16x16_bf16 a[140:143], a[110:111], v[84:85], a[140:143]// 000000007C84: D3E1808C 0E32A96E
	ds_write_b32 v15, v106 offset:15232                        // 000000007C8C: D81A3B80 00006A0F
	v_mfma_f32_16x16x16_bf16 a[144:147], a[104:105], v[86:87], a[144:147]// 000000007C94: D3E18090 0E42AD68
	v_mfma_f32_16x16x16_bf16 a[148:151], a[106:107], v[86:87], a[148:151]// 000000007C9C: D3E18094 0E52AD6A
	ds_write_b32 v15, v107 offset:16288                        // 000000007CA4: D81A3FA0 00006B0F
	v_mfma_f32_16x16x16_bf16 a[152:155], a[108:109], v[86:87], a[152:155]// 000000007CAC: D3E18098 0E62AD6C
	v_mfma_f32_16x16x16_bf16 a[156:159], a[110:111], v[86:87], a[156:159]// 000000007CB4: D3E1809C 0E72AD6E
	s_waitcnt vmcnt(8) lgkmcnt(4)                              // 000000007CBC: BF8C0478
	s_barrier                                                  // 000000007CC0: BF8A0000
	v_mfma_f32_16x16x16_bf16 v[148:151], v[52:53], a[24:25], 0 // 000000007CC4: D3E10094 12023134
	v_mul_f32_e32 v140, s48, v140                              // 000000007CCC: 0B191830
	v_mul_f32_e32 v144, s48, v144                              // 000000007CD0: 0B212030
	s_nop 0                                                    // 000000007CD4: BF800000
	v_mfma_f32_16x16x16_bf16 v[148:151], v[54:55], a[28:29], v[148:151]// 000000007CD8: D3E10094 16523936
	ds_read_b128 a[96:99], v12                                 // 000000007CE0: DBFE0000 6000000C
	buffer_load_dword v36, v1, s[8:11], 0 idxen                // 000000007CE8: E0502000 80022401
	v_mfma_f32_16x16x16_bf16 v[148:151], v[56:57], a[32:33], v[148:151]// 000000007CF0: D3E10094 16524138
	v_mfma_f32_16x16x16_bf16 v[148:151], v[58:59], a[36:37], v[148:151]// 000000007CF8: D3E10094 1652493A
	ds_read_b128 a[100:103], v12 offset:512                    // 000000007D00: DBFE0200 6400000C
	buffer_load_dword v37, v2, s[8:11], 0 idxen                // 000000007D08: E0502000 80022502
	v_mfma_f32_16x16x16_bf16 v[148:151], v[60:61], a[40:41], v[148:151]// 000000007D10: D3E10094 1652513C
	v_perm_b32 v100, v41, v40, s63                             // 000000007D18: D1ED0064 00FE5129
	v_perm_b32 v101, v41, v40, s64                             // 000000007D20: D1ED0065 01025129
	v_mfma_f32_16x16x16_bf16 v[148:151], v[62:63], a[44:45], v[148:151]// 000000007D28: D3E10094 1652593E
	ds_read_b128 a[104:107], v12 offset:2176                   // 000000007D30: DBFE0880 6800000C
	buffer_load_dword v38, v3, s[8:11], 0 idxen                // 000000007D38: E0502000 80022603
	v_mfma_f32_16x16x16_bf16 v[148:151], v[64:65], a[48:49], v[148:151]// 000000007D40: D3E10094 16526140
	v_perm_b32 v102, v43, v42, s63                             // 000000007D48: D1ED0066 00FE552B
	v_perm_b32 v103, v43, v42, s64                             // 000000007D50: D1ED0067 0102552B
	v_mfma_f32_16x16x16_bf16 v[148:151], v[66:67], a[52:53], v[148:151]// 000000007D58: D3E10094 16526942
	ds_read_b128 a[108:111], v12 offset:2688                   // 000000007D60: DBFE0A80 6C00000C
	buffer_load_dword v39, v4, s[8:11], 0 idxen                // 000000007D68: E0502000 80022704
	v_mfma_f32_16x16x16_bf16 v[148:151], v[68:69], a[56:57], v[148:151]// 000000007D70: D3E10094 16527144
	v_perm_b32 v104, v49, v48, s63                             // 000000007D78: D1ED0068 00FE6131
	v_perm_b32 v105, v49, v48, s64                             // 000000007D80: D1ED0069 01026131
	v_mfma_f32_16x16x16_bf16 v[148:151], v[70:71], a[60:61], v[148:151]// 000000007D88: D3E10094 16527946
	ds_read_b128 v[108:111], v12 offset:8704                   // 000000007D90: D9FE2200 6C00000C
	buffer_load_dword v44, v232, s[20:23], 0 idxen             // 000000007D98: E0502000 80052CE8
	v_mfma_f32_16x16x16_bf16 v[148:151], v[72:73], a[64:65], v[148:151]// 000000007DA0: D3E10094 16528148
	v_perm_b32 v106, v51, v50, s63                             // 000000007DA8: D1ED006A 00FE6533
	v_perm_b32 v107, v51, v50, s64                             // 000000007DB0: D1ED006B 01026533
	v_mfma_f32_16x16x16_bf16 v[148:151], v[74:75], a[68:69], v[148:151]// 000000007DB8: D3E10094 1652894A
	ds_read_b128 v[112:115], v12 offset:9216                   // 000000007DC0: D9FE2400 7000000C
	buffer_load_dword v45, v233, s[20:23], 0 idxen             // 000000007DC8: E0502000 80052DE9
	v_mfma_f32_16x16x16_bf16 v[152:155], v[52:53], a[26:27], 0 // 000000007DD0: D3E10098 12023534
	v_mov_b32_dpp v143, v140 quad_perm:[3,3,3,3] row_mask:0xf bank_mask:0xf// 000000007DD8: 7F1E02FA FF00FF8C
	v_mov_b32_dpp v142, v140 quad_perm:[2,2,2,2] row_mask:0xf bank_mask:0xf// 000000007DE0: 7F1C02FA FF00AA8C
	v_mov_b32_dpp v141, v140 quad_perm:[1,1,1,1] row_mask:0xf bank_mask:0xf// 000000007DE8: 7F1A02FA FF00558C
	v_mov_b32_dpp v140, v140 quad_perm:[0,0,0,0] row_mask:0xf bank_mask:0xf// 000000007DF0: 7F1802FA FF00008C
	v_mfma_f32_16x16x16_bf16 v[152:155], v[54:55], a[30:31], v[152:155]// 000000007DF8: D3E10098 16623D36
	ds_read_b128 v[116:119], v12 offset:10880                  // 000000007E00: D9FE2A80 7400000C
	buffer_load_dword v46, v234, s[20:23], 0 idxen             // 000000007E08: E0502000 80052EEA
	v_mfma_f32_16x16x16_bf16 v[152:155], v[56:57], a[34:35], v[152:155]// 000000007E10: D3E10098 16624538
	v_mov_b32_dpp v147, v144 quad_perm:[3,3,3,3] row_mask:0xf bank_mask:0xf// 000000007E18: 7F2602FA FF00FF90
	v_mov_b32_dpp v146, v144 quad_perm:[2,2,2,2] row_mask:0xf bank_mask:0xf// 000000007E20: 7F2402FA FF00AA90
	v_mov_b32_dpp v145, v144 quad_perm:[1,1,1,1] row_mask:0xf bank_mask:0xf// 000000007E28: 7F2202FA FF005590
	v_mov_b32_dpp v144, v144 quad_perm:[0,0,0,0] row_mask:0xf bank_mask:0xf// 000000007E30: 7F2002FA FF000090
	s_add_u32 s60, 0x80, s59                                   // 000000007E38: 803C3BFF 00000080
	v_mfma_f32_16x16x16_bf16 v[152:155], v[58:59], a[38:39], v[152:155]// 000000007E40: D3E10098 16624D3A
	ds_read_b128 v[120:123], v12 offset:11392                  // 000000007E48: D9FE2C80 7800000C
	buffer_load_dword v47, v235, s[20:23], 0 idxen             // 000000007E50: E0502000 80052FEB
	v_mfma_f32_16x16x16_bf16 v[152:155], v[60:61], a[42:43], v[152:155]// 000000007E58: D3E10098 1662553C
	s_cmp_lt_u32 s60, s58                                      // 000000007E60: BF0A3A3C
	s_cselect_b32 s68, s68, 0                                  // 000000007E64: 85448044
	s_cselect_b32 s100, s100, 0                                // 000000007E68: 85648064
	s_cselect_b32 s69, s69, 0                                  // 000000007E6C: 85458045
	v_mfma_f32_16x16x16_bf16 v[152:155], v[62:63], a[46:47], v[152:155]// 000000007E70: D3E10098 16625D3E
	buffer_load_dword v11, s[24:27], 0 idxen lds               // 000000007E78: E0512000 8006000B
	v_mfma_f32_16x16x16_bf16 v[152:155], v[64:65], a[50:51], v[152:155]// 000000007E80: D3E10098 16626540
	v_add_u32_e32 v1, s68, v1                                  // 000000007E88: 68020244
	v_add_u32_e32 v2, s68, v2                                  // 000000007E8C: 68040444
	v_add_u32_e32 v3, s68, v3                                  // 000000007E90: 68060644
	v_add_u32_e32 v4, s68, v4                                  // 000000007E94: 68080844
	v_mfma_f32_16x16x16_bf16 v[152:155], v[66:67], a[54:55], v[152:155]// 000000007E98: D3E10098 16626D42
	v_add_u32_e32 v232, s100, v232                             // 000000007EA0: 69D1D064
	v_add_u32_e32 v233, s100, v233                             // 000000007EA4: 69D3D264
	v_add_u32_e32 v234, s100, v234                             // 000000007EA8: 69D5D464
	v_add_u32_e32 v235, s100, v235                             // 000000007EAC: 69D7D664
	v_mfma_f32_16x16x16_bf16 v[152:155], v[68:69], a[58:59], v[152:155]// 000000007EB0: D3E10098 16627544
	s_mov_b32 m0, s81                                          // 000000007EB8: BEFC0051
	v_add_u32_e32 v11, s69, v11                                // 000000007EBC: 68161645
	v_mfma_f32_16x16x16_bf16 v[152:155], v[70:71], a[62:63], v[152:155]// 000000007EC0: D3E10098 16627D46
	s_cmp_ge_u32 s59, s73                                      // 000000007EC8: BF09493B
	s_cselect_b32 s66, s67, s66                                // 000000007ECC: 85424243
	v_mfma_f32_16x16x16_bf16 v[152:155], v[72:73], a[66:67], v[152:155]// 000000007ED0: D3E10098 16628548
	s_addk_i32 s59, 0x20                                       // 000000007ED8: B73B0020
	s_nop 0                                                    // 000000007EDC: BF800000
	s_cmp_lt_i32 s59, s58                                      // 000000007EE0: BF043A3B
	v_mfma_f32_16x16x16_bf16 v[152:155], v[74:75], a[70:71], v[152:155]// 000000007EE4: D3E10098 16628D4A
	s_cbranch_scc0 label_104F                                  // 000000007EEC: BF840001
	s_branch label_0674                                        // 000000007EF0: BF82F637

0000000000007ef4 <label_104F>:
	s_nop 0                                                    // 000000007EF4: BF800000
	s_nop 0                                                    // 000000007EF8: BF800000
	s_branch label_1A2D                                        // 000000007EFC: BF8209C9

0000000000007f00 <label_1052>:
	s_waitcnt lgkmcnt(4)                                       // 000000007F00: BF8CC47F
	s_barrier                                                  // 000000007F04: BF8A0000
	v_mfma_f32_16x16x16_bf16 v[52:55], a[96:97], a[0:1], 0     // 000000007F08: D3E10034 1A020160
	v_mul_f32_e32 v148, s47, v148                              // 000000007F10: 0B29282F
	v_mul_f32_e32 v149, s47, v149                              // 000000007F14: 0B2B2A2F
	v_mfma_f32_16x16x16_bf16 v[52:55], a[98:99], a[2:3], v[52:55]// 000000007F18: D3E10034 1CD20562
	ds_write_b32 v13, v48 offset:8704                          // 000000007F20: D81A2200 0000300D
	ds_write_b32 v13, v49 offset:9760                          // 000000007F28: D81A2620 0000310D
	v_mfma_f32_16x16x16_bf16 v[52:55], a[100:101], a[4:5], v[52:55]// 000000007F30: D3E10034 1CD20964
	v_mul_f32_e32 v150, s47, v150                              // 000000007F38: 0B2D2C2F
	v_mul_f32_e32 v151, s47, v151                              // 000000007F3C: 0B2F2E2F
	v_mfma_f32_16x16x16_bf16 v[52:55], a[102:103], a[6:7], v[52:55]// 000000007F40: D3E10034 1CD20D66
	ds_write_b32 v13, v50 offset:10880                         // 000000007F48: D81A2A80 0000320D
	ds_write_b32 v13, v51 offset:11936                         // 000000007F50: D81A2EA0 0000330D
	v_mfma_f32_16x16x16_bf16 v[56:59], a[96:97], a[8:9], 0     // 000000007F58: D3E10038 1A021160
	v_mul_f32_e32 v152, s47, v152                              // 000000007F60: 0B31302F
	v_mul_f32_e32 v153, s47, v153                              // 000000007F64: 0B33322F
	v_mfma_f32_16x16x16_bf16 v[56:59], a[98:99], a[10:11], v[56:59]// 000000007F68: D3E10038 1CE21562
	ds_write_b64 v22, v[148:149] offset:31232                  // 000000007F70: D89A7A00 00009416
	v_mfma_f32_16x16x16_bf16 v[56:59], a[100:101], a[12:13], v[56:59]// 000000007F78: D3E10038 1CE21964
	v_mul_f32_e32 v154, s47, v154                              // 000000007F80: 0B35342F
	v_mul_f32_e32 v155, s47, v155                              // 000000007F84: 0B37362F
	v_mfma_f32_16x16x16_bf16 v[56:59], a[102:103], a[14:15], v[56:59]// 000000007F88: D3E10038 1CE21D66
	ds_write_b64 v22, v[150:151] offset:31744                  // 000000007F90: D89A7C00 00009616
	v_mfma_f32_16x16x16_bf16 v[60:63], a[96:97], a[16:17], 0   // 000000007F98: D3E1003C 1A022160
	buffer_atomic_add_f32 v160, v8, s[32:35], 0 idxen          // 000000007FA0: E1342000 8008A008
	v_mfma_f32_16x16x16_bf16 v[60:63], a[98:99], a[18:19], v[60:63]// 000000007FA8: D3E1003C 1CF22562
	ds_write_b64 v22, v[152:153] offset:32256                  // 000000007FB0: D89A7E00 00009816
	v_mfma_f32_16x16x16_bf16 v[60:63], a[100:101], a[20:21], v[60:63]// 000000007FB8: D3E1003C 1CF22964
	v_mfma_f32_16x16x16_bf16 v[60:63], a[102:103], a[22:23], v[60:63]// 000000007FC0: D3E1003C 1CF22D66
	ds_write_b64 v22, v[154:155] offset:32768                  // 000000007FC8: D89A8000 00009A16
	v_mfma_f32_16x16x16_bf16 v[64:67], a[104:105], a[0:1], 0   // 000000007FD0: D3E10040 1A020168
	buffer_atomic_add_f32 v161, v9, s[32:35], 0 idxen          // 000000007FD8: E1342000 8008A109
	v_mfma_f32_16x16x16_bf16 v[64:67], a[106:107], a[2:3], v[64:67]// 000000007FE0: D3E10040 1D02056A
	ds_read_b128 v[124:127], v14 offset:13056                  // 000000007FE8: D9FE3300 7C00000E
	ds_write_b32 v13, v40                                      // 000000007FF0: D81A0000 0000280D
	v_mfma_f32_16x16x16_bf16 v[64:67], a[108:109], a[4:5], v[64:67]// 000000007FF8: D3E10040 1D02096C
	v_mfma_f32_16x16x16_bf16 v[64:67], a[110:111], a[6:7], v[64:67]// 000000008000: D3E10040 1D020D6E
	v_mfma_f32_16x16x16_bf16 v[68:71], a[104:105], a[8:9], 0   // 000000008008: D3E10044 1A021168
	ds_read_b128 v[128:131], v14 offset:13568                  // 000000008010: D9FE3500 8000000E
	ds_write_b32 v13, v41 offset:1056                          // 000000008018: D81A0420 0000290D
	v_mfma_f32_16x16x16_bf16 v[68:71], a[106:107], a[10:11], v[68:71]// 000000008020: D3E10044 1D12156A
	buffer_atomic_add_f32 v162, v8, s[32:35], 0 idxen offset:128// 000000008028: E1342080 8008A208
	v_mfma_f32_16x16x16_bf16 v[68:71], a[108:109], a[12:13], v[68:71]// 000000008030: D3E10044 1D12196C
	v_mfma_f32_16x16x16_bf16 v[68:71], a[110:111], a[14:15], v[68:71]// 000000008038: D3E10044 1D121D6E
	ds_read_b128 v[132:135], v14 offset:15232                  // 000000008040: D9FE3B80 8400000E
	ds_write_b32 v13, v42 offset:2176                          // 000000008048: D81A0880 00002A0D
	v_mfma_f32_16x16x16_bf16 v[72:75], a[104:105], a[16:17], 0 // 000000008050: D3E10048 1A022168
	v_mfma_f32_16x16x16_bf16 v[72:75], a[106:107], a[18:19], v[72:75]// 000000008058: D3E10048 1D22256A
	buffer_atomic_add_f32 v163, v9, s[32:35], 0 idxen offset:128// 000000008060: E1342080 8008A309
	v_mfma_f32_16x16x16_bf16 v[72:75], a[108:109], a[20:21], v[72:75]// 000000008068: D3E10048 1D22296C
	ds_read_b128 v[136:139], v14 offset:15744                  // 000000008070: D9FE3D80 8800000E
	ds_write_b32 v13, v43 offset:3232                          // 000000008078: D81A0CA0 00002B0D
	v_mfma_f32_16x16x16_bf16 v[72:75], a[110:111], a[22:23], v[72:75]// 000000008080: D3E10048 1D222D6E
	s_cmp_eq_i32 s82, 0                                        // 000000008088: BF008052
	s_cbranch_scc1 label_11AF                                  // 00000000808C: BF8500F0
	s_cmp_lt_i32 s74, 6                                        // 000000008090: BF04864A
	s_cbranch_scc0 label_1136                                  // 000000008094: BF84007E
	s_lshl_b32 s60, s74, 5                                     // 000000008098: 8E3C854A
	s_lshl_b32 s61, 0, 4                                       // 00000000809C: 8E3D8480
	s_add_i32 s60, s60, s61                                    // 0000000080A0: 813C3D3C
	v_sub_i32 v32, v236, s60                                   // 0000000080A4: D29D0020 000079EC
	s_mov_b32 s61, 0                                           // 0000000080AC: BEBD0080
	v_add_i32 v33, v32, s61                                    // 0000000080B0: D29C0021 00007B20
	v_cmp_gt_i32_e64 s[60:61], v33, 0                          // 0000000080B8: D0C4003C 00010121
	v_cmp_gt_i32_e64 s[70:71], v33, 1                          // 0000000080C0: D0C40046 00010321
	v_cndmask_b32_e64 v52, v52, v178, s[60:61]                 // 0000000080C8: D1000034 00F36534
	v_cndmask_b32_e64 v53, v53, v178, s[70:71]                 // 0000000080D0: D1000035 011B6535
	v_cmp_gt_i32_e64 s[60:61], v33, 2                          // 0000000080D8: D0C4003C 00010521
	v_cmp_gt_i32_e64 s[70:71], v33, 3                          // 0000000080E0: D0C40046 00010721
	v_cndmask_b32_e64 v54, v54, v178, s[60:61]                 // 0000000080E8: D1000036 00F36536
	v_cndmask_b32_e64 v55, v55, v178, s[70:71]                 // 0000000080F0: D1000037 011B6537
	s_mov_b32 s61, 64                                          // 0000000080F8: BEBD00C0
	v_add_i32 v33, v32, s61                                    // 0000000080FC: D29C0021 00007B20
	v_cmp_gt_i32_e64 s[60:61], v33, 0                          // 000000008104: D0C4003C 00010121
	v_cmp_gt_i32_e64 s[70:71], v33, 1                          // 00000000810C: D0C40046 00010321
	v_cndmask_b32_e64 v56, v56, v178, s[60:61]                 // 000000008114: D1000038 00F36538
	v_cndmask_b32_e64 v57, v57, v178, s[70:71]                 // 00000000811C: D1000039 011B6539
	v_cmp_gt_i32_e64 s[60:61], v33, 2                          // 000000008124: D0C4003C 00010521
	v_cmp_gt_i32_e64 s[70:71], v33, 3                          // 00000000812C: D0C40046 00010721
	v_cndmask_b32_e64 v58, v58, v178, s[60:61]                 // 000000008134: D100003A 00F3653A
	v_cndmask_b32_e64 v59, v59, v178, s[70:71]                 // 00000000813C: D100003B 011B653B
	s_mov_b32 s61, 0x80                                        // 000000008144: BEBD00FF 00000080
	v_add_i32 v33, v32, s61                                    // 00000000814C: D29C0021 00007B20
	v_cmp_gt_i32_e64 s[60:61], v33, 0                          // 000000008154: D0C4003C 00010121
	v_cmp_gt_i32_e64 s[70:71], v33, 1                          // 00000000815C: D0C40046 00010321
	v_cndmask_b32_e64 v60, v60, v178, s[60:61]                 // 000000008164: D100003C 00F3653C
	v_cndmask_b32_e64 v61, v61, v178, s[70:71]                 // 00000000816C: D100003D 011B653D
	v_cmp_gt_i32_e64 s[60:61], v33, 2                          // 000000008174: D0C4003C 00010521
	v_cmp_gt_i32_e64 s[70:71], v33, 3                          // 00000000817C: D0C40046 00010721
	v_cndmask_b32_e64 v62, v62, v178, s[60:61]                 // 000000008184: D100003E 00F3653E
	v_cndmask_b32_e64 v63, v63, v178, s[70:71]                 // 00000000818C: D100003F 011B653F
	s_lshl_b32 s60, s74, 5                                     // 000000008194: 8E3C854A
	s_lshl_b32 s61, 1, 4                                       // 000000008198: 8E3D8481
	s_add_i32 s60, s60, s61                                    // 00000000819C: 813C3D3C
	v_sub_i32 v32, v236, s60                                   // 0000000081A0: D29D0020 000079EC
	s_mov_b32 s61, 0                                           // 0000000081A8: BEBD0080
	v_add_i32 v33, v32, s61                                    // 0000000081AC: D29C0021 00007B20
	v_cmp_gt_i32_e64 s[60:61], v33, 0                          // 0000000081B4: D0C4003C 00010121
	v_cmp_gt_i32_e64 s[70:71], v33, 1                          // 0000000081BC: D0C40046 00010321
	v_cndmask_b32_e64 v64, v64, v178, s[60:61]                 // 0000000081C4: D1000040 00F36540
	v_cndmask_b32_e64 v65, v65, v178, s[70:71]                 // 0000000081CC: D1000041 011B6541
	v_cmp_gt_i32_e64 s[60:61], v33, 2                          // 0000000081D4: D0C4003C 00010521
	v_cmp_gt_i32_e64 s[70:71], v33, 3                          // 0000000081DC: D0C40046 00010721
	v_cndmask_b32_e64 v66, v66, v178, s[60:61]                 // 0000000081E4: D1000042 00F36542
	v_cndmask_b32_e64 v67, v67, v178, s[70:71]                 // 0000000081EC: D1000043 011B6543
	s_mov_b32 s61, 64                                          // 0000000081F4: BEBD00C0
	v_add_i32 v33, v32, s61                                    // 0000000081F8: D29C0021 00007B20
	v_cmp_gt_i32_e64 s[60:61], v33, 0                          // 000000008200: D0C4003C 00010121
	v_cmp_gt_i32_e64 s[70:71], v33, 1                          // 000000008208: D0C40046 00010321
	v_cndmask_b32_e64 v68, v68, v178, s[60:61]                 // 000000008210: D1000044 00F36544
	v_cndmask_b32_e64 v69, v69, v178, s[70:71]                 // 000000008218: D1000045 011B6545
	v_cmp_gt_i32_e64 s[60:61], v33, 2                          // 000000008220: D0C4003C 00010521
	v_cmp_gt_i32_e64 s[70:71], v33, 3                          // 000000008228: D0C40046 00010721
	v_cndmask_b32_e64 v70, v70, v178, s[60:61]                 // 000000008230: D1000046 00F36546
	v_cndmask_b32_e64 v71, v71, v178, s[70:71]                 // 000000008238: D1000047 011B6547
	s_mov_b32 s61, 0x80                                        // 000000008240: BEBD00FF 00000080
	v_add_i32 v33, v32, s61                                    // 000000008248: D29C0021 00007B20
	v_cmp_gt_i32_e64 s[60:61], v33, 0                          // 000000008250: D0C4003C 00010121
	v_cmp_gt_i32_e64 s[70:71], v33, 1                          // 000000008258: D0C40046 00010321
	v_cndmask_b32_e64 v72, v72, v178, s[60:61]                 // 000000008260: D1000048 00F36548
	v_cndmask_b32_e64 v73, v73, v178, s[70:71]                 // 000000008268: D1000049 011B6549
	v_cmp_gt_i32_e64 s[60:61], v33, 2                          // 000000008270: D0C4003C 00010521
	v_cmp_gt_i32_e64 s[70:71], v33, 3                          // 000000008278: D0C40046 00010721
	v_cndmask_b32_e64 v74, v74, v178, s[60:61]                 // 000000008280: D100004A 00F3654A
	v_cndmask_b32_e64 v75, v75, v178, s[70:71]                 // 000000008288: D100004B 011B654B

0000000000008290 <label_1136>:
	s_cmp_lt_i32 s84, 0xc0                                     // 000000008290: BF04FF54 000000C0
	s_cbranch_scc0 label_11AF                                  // 000000008298: BF84006D
	s_cmp_le_i32 s84, 64                                       // 00000000829C: BF05C054
	s_cbranch_scc1 label_1142                                  // 0000000082A0: BF850007
	s_cmp_le_i32 s84, 0x80                                     // 0000000082A4: BF05FF54 00000080
	s_cbranch_scc1 label_1166                                  // 0000000082AC: BF85001F
	s_cmp_lt_i32 s84, 0xc0                                     // 0000000082B0: BF04FF54 000000C0
	s_cbranch_scc1 label_118A                                  // 0000000082B8: BF850040
	s_branch label_11AF                                        // 0000000082BC: BF820064

00000000000082c0 <label_1142>:
	s_mov_b32 s60, 0                                           // 0000000082C0: BEBC0080
	v_and_b32_e32 v32, 15, v0                                  // 0000000082C4: 2640008F
	v_add_u32_e64 v32, v32, s60                                // 0000000082C8: D1340020 00007920
	v_mul_i32_i24_e64 v33, s46, 16                             // 0000000082D0: D1060021 0001202E
	v_add_u32_e32 v32, v32, v33                                // 0000000082D8: 68404320
	v_cmp_lt_u32_e64 s[60:61], v32, s84                        // 0000000082DC: D0C9003C 0000A920
	s_nop 1                                                    // 0000000082E4: BF800001
	v_cndmask_b32_e64 v52, v178, v52, s[60:61]                 // 0000000082E8: D1000034 00F269B2
	v_cndmask_b32_e64 v64, v178, v64, s[60:61]                 // 0000000082F0: D1000040 00F281B2
	v_cndmask_b32_e64 v53, v178, v53, s[60:61]                 // 0000000082F8: D1000035 00F26BB2
	v_cndmask_b32_e64 v65, v178, v65, s[60:61]                 // 000000008300: D1000041 00F283B2
	v_cndmask_b32_e64 v54, v178, v54, s[60:61]                 // 000000008308: D1000036 00F26DB2
	v_cndmask_b32_e64 v66, v178, v66, s[60:61]                 // 000000008310: D1000042 00F285B2
	v_cndmask_b32_e64 v55, v178, v55, s[60:61]                 // 000000008318: D1000037 00F26FB2
	v_cndmask_b32_e64 v67, v178, v67, s[60:61]                 // 000000008320: D1000043 00F287B2
	s_branch label_1181                                        // 000000008328: BF82001B

000000000000832c <label_1166>:
	s_mov_b32 s60, 64                                          // 00000000832C: BEBC00C0
	v_and_b32_e32 v32, 15, v0                                  // 000000008330: 2640008F
	v_add_u32_e64 v32, v32, s60                                // 000000008334: D1340020 00007920
	v_mul_i32_i24_e64 v33, s46, 16                             // 00000000833C: D1060021 0001202E
	v_add_u32_e32 v32, v32, v33                                // 000000008344: 68404320
	v_cmp_lt_u32_e64 s[60:61], v32, s84                        // 000000008348: D0C9003C 0000A920
	s_nop 1                                                    // 000000008350: BF800001
	v_cndmask_b32_e64 v56, v178, v56, s[60:61]                 // 000000008354: D1000038 00F271B2
	v_cndmask_b32_e64 v68, v178, v68, s[60:61]                 // 00000000835C: D1000044 00F289B2
	v_cndmask_b32_e64 v57, v178, v57, s[60:61]                 // 000000008364: D1000039 00F273B2
	v_cndmask_b32_e64 v69, v178, v69, s[60:61]                 // 00000000836C: D1000045 00F28BB2
	v_cndmask_b32_e64 v58, v178, v58, s[60:61]                 // 000000008374: D100003A 00F275B2
	v_cndmask_b32_e64 v70, v178, v70, s[60:61]                 // 00000000837C: D1000046 00F28DB2
	v_cndmask_b32_e64 v59, v178, v59, s[60:61]                 // 000000008384: D100003B 00F277B2
	v_cndmask_b32_e64 v71, v178, v71, s[60:61]                 // 00000000838C: D1000047 00F28FB2
	s_branch label_11A6                                        // 000000008394: BF820025

0000000000008398 <label_1181>:
	v_mov_b32_e32 v56, v178                                    // 000000008398: 7E7003B2
	v_mov_b32_e32 v68, v178                                    // 00000000839C: 7E8803B2
	v_mov_b32_e32 v57, v178                                    // 0000000083A0: 7E7203B2
	v_mov_b32_e32 v69, v178                                    // 0000000083A4: 7E8A03B2
	v_mov_b32_e32 v58, v178                                    // 0000000083A8: 7E7403B2
	v_mov_b32_e32 v70, v178                                    // 0000000083AC: 7E8C03B2
	v_mov_b32_e32 v59, v178                                    // 0000000083B0: 7E7603B2
	v_mov_b32_e32 v71, v178                                    // 0000000083B4: 7E8E03B2
	s_branch label_11A6                                        // 0000000083B8: BF82001C

00000000000083bc <label_118A>:
	s_mov_b32 s60, 0x80                                        // 0000000083BC: BEBC00FF 00000080
	v_and_b32_e32 v32, 15, v0                                  // 0000000083C4: 2640008F
	v_add_u32_e64 v32, v32, s60                                // 0000000083C8: D1340020 00007920
	v_mul_i32_i24_e64 v33, s46, 16                             // 0000000083D0: D1060021 0001202E
	v_add_u32_e32 v32, v32, v33                                // 0000000083D8: 68404320
	v_cmp_lt_u32_e64 s[60:61], v32, s84                        // 0000000083DC: D0C9003C 0000A920
	s_nop 1                                                    // 0000000083E4: BF800001
	v_cndmask_b32_e64 v60, v178, v60, s[60:61]                 // 0000000083E8: D100003C 00F279B2
	v_cndmask_b32_e64 v72, v178, v72, s[60:61]                 // 0000000083F0: D1000048 00F291B2
	v_cndmask_b32_e64 v61, v178, v61, s[60:61]                 // 0000000083F8: D100003D 00F27BB2
	v_cndmask_b32_e64 v73, v178, v73, s[60:61]                 // 000000008400: D1000049 00F293B2
	v_cndmask_b32_e64 v62, v178, v62, s[60:61]                 // 000000008408: D100003E 00F27DB2
	v_cndmask_b32_e64 v74, v178, v74, s[60:61]                 // 000000008410: D100004A 00F295B2
	v_cndmask_b32_e64 v63, v178, v63, s[60:61]                 // 000000008418: D100003F 00F27FB2
	v_cndmask_b32_e64 v75, v178, v75, s[60:61]                 // 000000008420: D100004B 00F297B2
	s_branch label_11AF                                        // 000000008428: BF820009

000000000000842c <label_11A6>:
	v_mov_b32_e32 v60, v178                                    // 00000000842C: 7E7803B2
	v_mov_b32_e32 v72, v178                                    // 000000008430: 7E9003B2
	v_mov_b32_e32 v61, v178                                    // 000000008434: 7E7A03B2
	v_mov_b32_e32 v73, v178                                    // 000000008438: 7E9203B2
	v_mov_b32_e32 v62, v178                                    // 00000000843C: 7E7C03B2
	v_mov_b32_e32 v74, v178                                    // 000000008440: 7E9403B2
	v_mov_b32_e32 v63, v178                                    // 000000008444: 7E7E03B2
	v_mov_b32_e32 v75, v178                                    // 000000008448: 7E9603B2
	s_branch label_11AF                                        // 00000000844C: BF820000

0000000000008450 <label_11AF>:
	s_addk_i32 s74, 0x1                                        // 000000008450: B74A0001
	s_waitcnt lgkmcnt(8)                                       // 000000008454: BF8CC87F
	s_barrier                                                  // 000000008458: BF8A0000
	v_mfma_f32_16x16x16_bf16 v[76:79], v[108:109], a[72:73], 0 // 00000000845C: D3E1004C 1202916C
	v_fma_f32 v52, v52, s57, -v140                             // 000000008464: D1CB0034 86307334
	v_fma_f32 v53, v53, s57, -v141                             // 00000000846C: D1CB0035 86347335
	v_fma_f32 v54, v54, s57, -v142                             // 000000008474: D1CB0036 86387336
	v_fma_f32 v55, v55, s57, -v143                             // 00000000847C: D1CB0037 863C7337
	v_fma_f32 v56, v56, s57, -v140                             // 000000008484: D1CB0038 86307338
	v_fma_f32 v57, v57, s57, -v141                             // 00000000848C: D1CB0039 86347339
	v_mfma_f32_16x16x16_bf16 v[76:79], v[110:111], a[74:75], v[76:79]// 000000008494: D3E1004C 1532956E
	ds_read_b128 a[96:99], v14 offset:4352                     // 00000000849C: DBFE1100 6000000E
	ds_read_b128 a[100:103], v14 offset:4864                   // 0000000084A4: DBFE1300 6400000E
	v_mfma_f32_16x16x16_bf16 v[76:79], v[112:113], a[76:77], v[76:79]// 0000000084AC: D3E1004C 15329970
	v_fma_f32 v58, v58, s57, -v142                             // 0000000084B4: D1CB003A 8638733A
	v_fma_f32 v59, v59, s57, -v143                             // 0000000084BC: D1CB003B 863C733B
	v_fma_f32 v60, v60, s57, -v140                             // 0000000084C4: D1CB003C 8630733C
	v_fma_f32 v61, v61, s57, -v141                             // 0000000084CC: D1CB003D 8634733D
	v_fma_f32 v62, v62, s57, -v142                             // 0000000084D4: D1CB003E 8638733E
	v_fma_f32 v63, v63, s57, -v143                             // 0000000084DC: D1CB003F 863C733F
	v_mfma_f32_16x16x16_bf16 v[76:79], v[114:115], a[78:79], v[76:79]// 0000000084E4: D3E1004C 15329D72
	v_fma_f32 v64, v64, s57, -v144                             // 0000000084EC: D1CB0040 86407340
	v_fma_f32 v65, v65, s57, -v145                             // 0000000084F4: D1CB0041 86447341
	v_fma_f32 v66, v66, s57, -v146                             // 0000000084FC: D1CB0042 86487342
	v_fma_f32 v67, v67, s57, -v147                             // 000000008504: D1CB0043 864C7343
	v_fma_f32 v68, v68, s57, -v144                             // 00000000850C: D1CB0044 86407344
	v_fma_f32 v69, v69, s57, -v145                             // 000000008514: D1CB0045 86447345
	v_mfma_f32_16x16x16_bf16 v[80:83], v[108:109], a[80:81], 0 // 00000000851C: D3E10050 1202A16C
	v_fma_f32 v70, v70, s57, -v146                             // 000000008524: D1CB0046 86487346
	v_fma_f32 v71, v71, s57, -v147                             // 00000000852C: D1CB0047 864C7347
	v_fma_f32 v72, v72, s57, -v144                             // 000000008534: D1CB0048 86407348
	v_fma_f32 v73, v73, s57, -v145                             // 00000000853C: D1CB0049 86447349
	v_fma_f32 v74, v74, s57, -v146                             // 000000008544: D1CB004A 8648734A
	v_fma_f32 v75, v75, s57, -v147                             // 00000000854C: D1CB004B 864C734B
	v_mfma_f32_16x16x16_bf16 v[80:83], v[110:111], a[82:83], v[80:83]// 000000008554: D3E10050 1542A56E
	ds_read_b128 a[104:107], v14 offset:6528                   // 00000000855C: DBFE1980 6800000E
	ds_read_b128 a[108:111], v14 offset:7040                   // 000000008564: DBFE1B80 6C00000E
	v_mfma_f32_16x16x16_bf16 v[80:83], v[112:113], a[84:85], v[80:83]// 00000000856C: D3E10050 1542A970
	v_exp_f32_e32 v52, v52                                     // 000000008574: 7E684134
	v_exp_f32_e32 v53, v53                                     // 000000008578: 7E6A4135
	v_mfma_f32_16x16x16_bf16 v[80:83], v[114:115], a[86:87], v[80:83]// 00000000857C: D3E10050 1542AD72
	v_exp_f32_e32 v54, v54                                     // 000000008584: 7E6C4136
	v_exp_f32_e32 v55, v55                                     // 000000008588: 7E6E4137
	v_mfma_f32_16x16x16_bf16 v[84:87], v[108:109], a[88:89], 0 // 00000000858C: D3E10054 1202B16C
	v_exp_f32_e32 v56, v56                                     // 000000008594: 7E704138
	v_exp_f32_e32 v57, v57                                     // 000000008598: 7E724139
	v_mfma_f32_16x16x16_bf16 v[84:87], v[110:111], a[90:91], v[84:87]// 00000000859C: D3E10054 1552B56E
	ds_read_b64 v[156:157], v21 offset:31232                   // 0000000085A4: D8EC7A00 9C000015
	ds_read_b64 v[158:159], v21 offset:33280                   // 0000000085AC: D8EC8200 9E000015
	v_mfma_f32_16x16x16_bf16 v[84:87], v[112:113], a[92:93], v[84:87]// 0000000085B4: D3E10054 1552B970
	v_exp_f32_e32 v58, v58                                     // 0000000085BC: 7E74413A
	v_exp_f32_e32 v59, v59                                     // 0000000085C0: 7E76413B
	v_mfma_f32_16x16x16_bf16 v[84:87], v[114:115], a[94:95], v[84:87]// 0000000085C4: D3E10054 1552BD72
	ds_read_b64 v[160:161], v21 offset:35328                   // 0000000085CC: D8EC8A00 A0000015
	ds_read_b64 v[162:163], v21 offset:37376                   // 0000000085D4: D8EC9200 A2000015
	v_mfma_f32_16x16x16_bf16 v[88:91], v[116:117], a[72:73], 0 // 0000000085DC: D3E10058 12029174
	v_exp_f32_e32 v60, v60                                     // 0000000085E4: 7E78413C
	v_exp_f32_e32 v61, v61                                     // 0000000085E8: 7E7A413D
	v_mfma_f32_16x16x16_bf16 v[88:91], v[118:119], a[74:75], v[88:91]// 0000000085EC: D3E10058 15629576
	v_exp_f32_e32 v62, v62                                     // 0000000085F4: 7E7C413E
	v_exp_f32_e32 v63, v63                                     // 0000000085F8: 7E7E413F
	v_mfma_f32_16x16x16_bf16 v[88:91], v[120:121], a[76:77], v[88:91]// 0000000085FC: D3E10058 15629978
	v_exp_f32_e32 v64, v64                                     // 000000008604: 7E804140
	v_exp_f32_e32 v65, v65                                     // 000000008608: 7E824141
	v_mfma_f32_16x16x16_bf16 v[88:91], v[122:123], a[78:79], v[88:91]// 00000000860C: D3E10058 15629D7A
	v_exp_f32_e32 v66, v66                                     // 000000008614: 7E844142
	v_exp_f32_e32 v67, v67                                     // 000000008618: 7E864143
	v_mfma_f32_16x16x16_bf16 v[92:95], v[116:117], a[80:81], 0 // 00000000861C: D3E1005C 1202A174
	v_exp_f32_e32 v68, v68                                     // 000000008624: 7E884144
	v_exp_f32_e32 v69, v69                                     // 000000008628: 7E8A4145
	v_mfma_f32_16x16x16_bf16 v[92:95], v[118:119], a[82:83], v[92:95]// 00000000862C: D3E1005C 1572A576
	v_exp_f32_e32 v70, v70                                     // 000000008634: 7E8C4146
	v_exp_f32_e32 v71, v71                                     // 000000008638: 7E8E4147
	v_mfma_f32_16x16x16_bf16 v[92:95], v[120:121], a[84:85], v[92:95]// 00000000863C: D3E1005C 1572A978
	v_exp_f32_e32 v72, v72                                     // 000000008644: 7E904148
	v_exp_f32_e32 v73, v73                                     // 000000008648: 7E924149
	v_mfma_f32_16x16x16_bf16 v[92:95], v[122:123], a[86:87], v[92:95]// 00000000864C: D3E1005C 1572AD7A
	v_exp_f32_e32 v74, v74                                     // 000000008654: 7E94414A
	v_exp_f32_e32 v75, v75                                     // 000000008658: 7E96414B
	v_mfma_f32_16x16x16_bf16 v[96:99], v[116:117], a[88:89], 0 // 00000000865C: D3E10060 1202B174
	v_cmp_u_f32_e64 s[78:79], v52, v52                         // 000000008664: D048004E 00026934
	v_add3_u32 v228, v52, v231, 1                              // 00000000866C: D1FF00E4 0207CF34
	v_cndmask_b32_e64 v32, v228, v230, s[78:79]                // 000000008674: D1000020 013BCDE4
	v_cmp_u_f32_e64 s[78:79], v53, v53                         // 00000000867C: D048004E 00026B35
	v_add3_u32 v228, v53, v231, 1                              // 000000008684: D1FF00E4 0207CF35
	v_cndmask_b32_e64 v33, v228, v230, s[78:79]                // 00000000868C: D1000021 013BCDE4
	v_perm_b32 v164, v33, v32, s64                             // 000000008694: D1ED00A4 01024121
	v_cmp_u_f32_e64 s[78:79], v54, v54                         // 00000000869C: D048004E 00026D36
	v_add3_u32 v228, v54, v231, 1                              // 0000000086A4: D1FF00E4 0207CF36
	v_cndmask_b32_e64 v32, v228, v230, s[78:79]                // 0000000086AC: D1000020 013BCDE4
	v_cmp_u_f32_e64 s[78:79], v55, v55                         // 0000000086B4: D048004E 00026F37
	v_add3_u32 v228, v55, v231, 1                              // 0000000086BC: D1FF00E4 0207CF37
	v_cndmask_b32_e64 v33, v228, v230, s[78:79]                // 0000000086C4: D1000021 013BCDE4
	v_perm_b32 v165, v33, v32, s64                             // 0000000086CC: D1ED00A5 01024121
	v_cmp_u_f32_e64 s[78:79], v56, v56                         // 0000000086D4: D048004E 00027138
	v_add3_u32 v228, v56, v231, 1                              // 0000000086DC: D1FF00E4 0207CF38
	v_cndmask_b32_e64 v32, v228, v230, s[78:79]                // 0000000086E4: D1000020 013BCDE4
	v_cmp_u_f32_e64 s[78:79], v57, v57                         // 0000000086EC: D048004E 00027339
	v_add3_u32 v228, v57, v231, 1                              // 0000000086F4: D1FF00E4 0207CF39
	v_cndmask_b32_e64 v33, v228, v230, s[78:79]                // 0000000086FC: D1000021 013BCDE4
	v_perm_b32 v166, v33, v32, s64                             // 000000008704: D1ED00A6 01024121
	v_cmp_u_f32_e64 s[78:79], v58, v58                         // 00000000870C: D048004E 0002753A
	v_add3_u32 v228, v58, v231, 1                              // 000000008714: D1FF00E4 0207CF3A
	v_cndmask_b32_e64 v32, v228, v230, s[78:79]                // 00000000871C: D1000020 013BCDE4
	v_cmp_u_f32_e64 s[78:79], v59, v59                         // 000000008724: D048004E 0002773B
	v_add3_u32 v228, v59, v231, 1                              // 00000000872C: D1FF00E4 0207CF3B
	v_cndmask_b32_e64 v33, v228, v230, s[78:79]                // 000000008734: D1000021 013BCDE4
	v_perm_b32 v167, v33, v32, s64                             // 00000000873C: D1ED00A7 01024121
	v_cmp_u_f32_e64 s[78:79], v60, v60                         // 000000008744: D048004E 0002793C
	v_add3_u32 v228, v60, v231, 1                              // 00000000874C: D1FF00E4 0207CF3C
	v_cndmask_b32_e64 v32, v228, v230, s[78:79]                // 000000008754: D1000020 013BCDE4
	v_cmp_u_f32_e64 s[78:79], v61, v61                         // 00000000875C: D048004E 00027B3D
	v_add3_u32 v228, v61, v231, 1                              // 000000008764: D1FF00E4 0207CF3D
	v_cndmask_b32_e64 v33, v228, v230, s[78:79]                // 00000000876C: D1000021 013BCDE4
	v_perm_b32 v168, v33, v32, s64                             // 000000008774: D1ED00A8 01024121
	v_cmp_u_f32_e64 s[78:79], v62, v62                         // 00000000877C: D048004E 00027D3E
	v_add3_u32 v228, v62, v231, 1                              // 000000008784: D1FF00E4 0207CF3E
	v_cndmask_b32_e64 v32, v228, v230, s[78:79]                // 00000000878C: D1000020 013BCDE4
	v_cmp_u_f32_e64 s[78:79], v63, v63                         // 000000008794: D048004E 00027F3F
	v_add3_u32 v228, v63, v231, 1                              // 00000000879C: D1FF00E4 0207CF3F
	v_cndmask_b32_e64 v33, v228, v230, s[78:79]                // 0000000087A4: D1000021 013BCDE4
	v_perm_b32 v169, v33, v32, s64                             // 0000000087AC: D1ED00A9 01024121
	v_mfma_f32_16x16x16_bf16 v[96:99], v[118:119], a[90:91], v[96:99]// 0000000087B4: D3E10060 1582B576
	v_cmp_u_f32_e64 s[78:79], v64, v64                         // 0000000087BC: D048004E 00028140
	v_add3_u32 v228, v64, v231, 1                              // 0000000087C4: D1FF00E4 0207CF40
	v_cndmask_b32_e64 v32, v228, v230, s[78:79]                // 0000000087CC: D1000020 013BCDE4
	v_cmp_u_f32_e64 s[78:79], v65, v65                         // 0000000087D4: D048004E 00028341
	v_add3_u32 v228, v65, v231, 1                              // 0000000087DC: D1FF00E4 0207CF41
	v_cndmask_b32_e64 v33, v228, v230, s[78:79]                // 0000000087E4: D1000021 013BCDE4
	v_perm_b32 v170, v33, v32, s64                             // 0000000087EC: D1ED00AA 01024121
	v_cmp_u_f32_e64 s[78:79], v66, v66                         // 0000000087F4: D048004E 00028542
	v_add3_u32 v228, v66, v231, 1                              // 0000000087FC: D1FF00E4 0207CF42
	v_cndmask_b32_e64 v32, v228, v230, s[78:79]                // 000000008804: D1000020 013BCDE4
	v_cmp_u_f32_e64 s[78:79], v67, v67                         // 00000000880C: D048004E 00028743
	v_add3_u32 v228, v67, v231, 1                              // 000000008814: D1FF00E4 0207CF43
	v_cndmask_b32_e64 v33, v228, v230, s[78:79]                // 00000000881C: D1000021 013BCDE4
	v_perm_b32 v171, v33, v32, s64                             // 000000008824: D1ED00AB 01024121
	v_cmp_u_f32_e64 s[78:79], v68, v68                         // 00000000882C: D048004E 00028944
	v_add3_u32 v228, v68, v231, 1                              // 000000008834: D1FF00E4 0207CF44
	v_cndmask_b32_e64 v32, v228, v230, s[78:79]                // 00000000883C: D1000020 013BCDE4
	v_cmp_u_f32_e64 s[78:79], v69, v69                         // 000000008844: D048004E 00028B45
	v_add3_u32 v228, v69, v231, 1                              // 00000000884C: D1FF00E4 0207CF45
	v_cndmask_b32_e64 v33, v228, v230, s[78:79]                // 000000008854: D1000021 013BCDE4
	v_perm_b32 v172, v33, v32, s64                             // 00000000885C: D1ED00AC 01024121
	v_cmp_u_f32_e64 s[78:79], v70, v70                         // 000000008864: D048004E 00028D46
	v_add3_u32 v228, v70, v231, 1                              // 00000000886C: D1FF00E4 0207CF46
	v_cndmask_b32_e64 v32, v228, v230, s[78:79]                // 000000008874: D1000020 013BCDE4
	v_cmp_u_f32_e64 s[78:79], v71, v71                         // 00000000887C: D048004E 00028F47
	v_add3_u32 v228, v71, v231, 1                              // 000000008884: D1FF00E4 0207CF47
	v_cndmask_b32_e64 v33, v228, v230, s[78:79]                // 00000000888C: D1000021 013BCDE4
	v_perm_b32 v173, v33, v32, s64                             // 000000008894: D1ED00AD 01024121
	v_cmp_u_f32_e64 s[78:79], v72, v72                         // 00000000889C: D048004E 00029148
	v_add3_u32 v228, v72, v231, 1                              // 0000000088A4: D1FF00E4 0207CF48
	v_cndmask_b32_e64 v32, v228, v230, s[78:79]                // 0000000088AC: D1000020 013BCDE4
	v_cmp_u_f32_e64 s[78:79], v73, v73                         // 0000000088B4: D048004E 00029349
	v_add3_u32 v228, v73, v231, 1                              // 0000000088BC: D1FF00E4 0207CF49
	v_cndmask_b32_e64 v33, v228, v230, s[78:79]                // 0000000088C4: D1000021 013BCDE4
	v_perm_b32 v174, v33, v32, s64                             // 0000000088CC: D1ED00AE 01024121
	v_cmp_u_f32_e64 s[78:79], v74, v74                         // 0000000088D4: D048004E 0002954A
	v_add3_u32 v228, v74, v231, 1                              // 0000000088DC: D1FF00E4 0207CF4A
	v_cndmask_b32_e64 v32, v228, v230, s[78:79]                // 0000000088E4: D1000020 013BCDE4
	v_cmp_u_f32_e64 s[78:79], v75, v75                         // 0000000088EC: D048004E 0002974B
	v_add3_u32 v228, v75, v231, 1                              // 0000000088F4: D1FF00E4 0207CF4B
	v_cndmask_b32_e64 v33, v228, v230, s[78:79]                // 0000000088FC: D1000021 013BCDE4
	v_perm_b32 v175, v33, v32, s64                             // 000000008904: D1ED00AF 01024121
	v_mfma_f32_16x16x16_bf16 v[96:99], v[120:121], a[92:93], v[96:99]// 00000000890C: D3E10060 1582B978
	v_add_u32_e32 v6, s66, v6                                  // 000000008914: 680C0C42
	v_add_u32_e32 v7, s66, v7                                  // 000000008918: 680E0E42
	v_add_u32_e32 v8, s66, v8                                  // 00000000891C: 68101042
	v_add_u32_e32 v9, s66, v9                                  // 000000008920: 68121242
	v_mfma_f32_16x16x16_bf16 v[96:99], v[122:123], a[94:95], v[96:99]// 000000008924: D3E10060 1582BD7A
	s_waitcnt lgkmcnt(0)                                       // 00000000892C: BF8CC07F
	s_barrier                                                  // 000000008930: BF8A0000
	v_mfma_f32_16x16x16_bf16 v[180:183], v[124:125], v[164:165], v[180:183]// 000000008934: D3E100B4 06D3497C
	v_subrev_f32_dpp v76, v176, v76 quad_perm:[0,0,0,0] row_mask:0xf bank_mask:0xf// 00000000893C: 069898FA FF0000B0
	v_subrev_f32_dpp v77, v176, v77 quad_perm:[1,1,1,1] row_mask:0xf bank_mask:0xf// 000000008944: 069A9AFA FF0055B0
	v_subrev_f32_dpp v78, v176, v78 quad_perm:[2,2,2,2] row_mask:0xf bank_mask:0xf// 00000000894C: 069C9CFA FF00AAB0
	v_subrev_f32_dpp v79, v176, v79 quad_perm:[3,3,3,3] row_mask:0xf bank_mask:0xf// 000000008954: 069E9EFA FF00FFB0
	v_subrev_f32_dpp v80, v176, v80 quad_perm:[0,0,0,0] row_mask:0xf bank_mask:0xf// 00000000895C: 06A0A0FA FF0000B0
	v_subrev_f32_dpp v81, v176, v81 quad_perm:[1,1,1,1] row_mask:0xf bank_mask:0xf// 000000008964: 06A2A2FA FF0055B0
	v_mfma_f32_16x16x16_bf16 v[184:187], v[126:127], v[164:165], v[184:187]// 00000000896C: D3E100B8 06E3497E
	v_subrev_f32_dpp v82, v176, v82 quad_perm:[2,2,2,2] row_mask:0xf bank_mask:0xf// 000000008974: 06A4A4FA FF00AAB0
	v_subrev_f32_dpp v83, v176, v83 quad_perm:[3,3,3,3] row_mask:0xf bank_mask:0xf// 00000000897C: 06A6A6FA FF00FFB0
	v_subrev_f32_dpp v84, v176, v84 quad_perm:[0,0,0,0] row_mask:0xf bank_mask:0xf// 000000008984: 06A8A8FA FF0000B0
	v_subrev_f32_dpp v85, v176, v85 quad_perm:[1,1,1,1] row_mask:0xf bank_mask:0xf// 00000000898C: 06AAAAFA FF0055B0
	v_subrev_f32_dpp v86, v176, v86 quad_perm:[2,2,2,2] row_mask:0xf bank_mask:0xf// 000000008994: 06ACACFA FF00AAB0
	v_subrev_f32_dpp v87, v176, v87 quad_perm:[3,3,3,3] row_mask:0xf bank_mask:0xf// 00000000899C: 06AEAEFA FF00FFB0
	v_mfma_f32_16x16x16_bf16 v[188:191], v[128:129], v[164:165], v[188:191]// 0000000089A4: D3E100BC 06F34980
	v_mul_f32_e32 v76, v52, v76                                // 0000000089AC: 0A989934
	v_mul_f32_e32 v77, v53, v77                                // 0000000089B0: 0A9A9B35
	v_mul_f32_e32 v78, v54, v78                                // 0000000089B4: 0A9C9D36
	v_mul_f32_e32 v79, v55, v79                                // 0000000089B8: 0A9E9F37
	v_mul_f32_e32 v80, v56, v80                                // 0000000089BC: 0AA0A138
	v_mul_f32_e32 v81, v57, v81                                // 0000000089C0: 0AA2A339
	v_mfma_f32_16x16x16_bf16 v[192:195], v[130:131], v[164:165], v[192:195]// 0000000089C4: D3E100C0 07034982
	v_mul_f32_e32 v82, v58, v82                                // 0000000089CC: 0AA4A53A
	v_mul_f32_e32 v83, v59, v83                                // 0000000089D0: 0AA6A73B
	v_mul_f32_e32 v84, v60, v84                                // 0000000089D4: 0AA8A93C
	v_mul_f32_e32 v85, v61, v85                                // 0000000089D8: 0AAAAB3D
	v_mul_f32_e32 v86, v62, v86                                // 0000000089DC: 0AACAD3E
	v_mul_f32_e32 v87, v63, v87                                // 0000000089E0: 0AAEAF3F
	v_mfma_f32_16x16x16_bf16 v[196:199], v[124:125], v[166:167], v[196:199]// 0000000089E4: D3E100C4 07134D7C
	v_cmp_u_f32_e64 s[78:79], v76, v76                         // 0000000089EC: D048004E 0002994C
	v_add3_u32 v228, v76, v231, 1                              // 0000000089F4: D1FF00E4 0207CF4C
	v_cndmask_b32_e64 v32, v228, v230, s[78:79]                // 0000000089FC: D1000020 013BCDE4
	v_cmp_u_f32_e64 s[78:79], v77, v77                         // 000000008A04: D048004E 00029B4D
	v_add3_u32 v228, v77, v231, 1                              // 000000008A0C: D1FF00E4 0207CF4D
	v_cndmask_b32_e64 v33, v228, v230, s[78:79]                // 000000008A14: D1000021 013BCDE4
	v_perm_b32 v76, v33, v32, s64                              // 000000008A1C: D1ED004C 01024121
	v_cmp_u_f32_e64 s[78:79], v78, v78                         // 000000008A24: D048004E 00029D4E
	v_add3_u32 v228, v78, v231, 1                              // 000000008A2C: D1FF00E4 0207CF4E
	v_cndmask_b32_e64 v32, v228, v230, s[78:79]                // 000000008A34: D1000020 013BCDE4
	v_cmp_u_f32_e64 s[78:79], v79, v79                         // 000000008A3C: D048004E 00029F4F
	v_add3_u32 v228, v79, v231, 1                              // 000000008A44: D1FF00E4 0207CF4F
	v_cndmask_b32_e64 v33, v228, v230, s[78:79]                // 000000008A4C: D1000021 013BCDE4
	v_perm_b32 v77, v33, v32, s64                              // 000000008A54: D1ED004D 01024121
	v_cmp_u_f32_e64 s[78:79], v80, v80                         // 000000008A5C: D048004E 0002A150
	v_add3_u32 v228, v80, v231, 1                              // 000000008A64: D1FF00E4 0207CF50
	v_cndmask_b32_e64 v32, v228, v230, s[78:79]                // 000000008A6C: D1000020 013BCDE4
	v_cmp_u_f32_e64 s[78:79], v81, v81                         // 000000008A74: D048004E 0002A351
	v_add3_u32 v228, v81, v231, 1                              // 000000008A7C: D1FF00E4 0207CF51
	v_cndmask_b32_e64 v33, v228, v230, s[78:79]                // 000000008A84: D1000021 013BCDE4
	v_perm_b32 v78, v33, v32, s64                              // 000000008A8C: D1ED004E 01024121
	v_cmp_u_f32_e64 s[78:79], v82, v82                         // 000000008A94: D048004E 0002A552
	v_add3_u32 v228, v82, v231, 1                              // 000000008A9C: D1FF00E4 0207CF52
	v_cndmask_b32_e64 v32, v228, v230, s[78:79]                // 000000008AA4: D1000020 013BCDE4
	v_cmp_u_f32_e64 s[78:79], v83, v83                         // 000000008AAC: D048004E 0002A753
	v_add3_u32 v228, v83, v231, 1                              // 000000008AB4: D1FF00E4 0207CF53
	v_cndmask_b32_e64 v33, v228, v230, s[78:79]                // 000000008ABC: D1000021 013BCDE4
	v_perm_b32 v79, v33, v32, s64                              // 000000008AC4: D1ED004F 01024121
	v_cmp_u_f32_e64 s[78:79], v84, v84                         // 000000008ACC: D048004E 0002A954
	v_add3_u32 v228, v84, v231, 1                              // 000000008AD4: D1FF00E4 0207CF54
	v_cndmask_b32_e64 v32, v228, v230, s[78:79]                // 000000008ADC: D1000020 013BCDE4
	v_cmp_u_f32_e64 s[78:79], v85, v85                         // 000000008AE4: D048004E 0002AB55
	v_add3_u32 v228, v85, v231, 1                              // 000000008AEC: D1FF00E4 0207CF55
	v_cndmask_b32_e64 v33, v228, v230, s[78:79]                // 000000008AF4: D1000021 013BCDE4
	v_perm_b32 v80, v33, v32, s64                              // 000000008AFC: D1ED0050 01024121
	v_cmp_u_f32_e64 s[78:79], v86, v86                         // 000000008B04: D048004E 0002AD56
	v_add3_u32 v228, v86, v231, 1                              // 000000008B0C: D1FF00E4 0207CF56
	v_cndmask_b32_e64 v32, v228, v230, s[78:79]                // 000000008B14: D1000020 013BCDE4
	v_cmp_u_f32_e64 s[78:79], v87, v87                         // 000000008B1C: D048004E 0002AF57
	v_add3_u32 v228, v87, v231, 1                              // 000000008B24: D1FF00E4 0207CF57
	v_cndmask_b32_e64 v33, v228, v230, s[78:79]                // 000000008B2C: D1000021 013BCDE4
	v_perm_b32 v81, v33, v32, s64                              // 000000008B34: D1ED0051 01024121
	v_mfma_f32_16x16x16_bf16 v[200:203], v[126:127], v[166:167], v[200:203]// 000000008B3C: D3E100C8 07234D7E
	v_mov_b32_dpp v18, v76 quad_perm:[1,0,3,2] row_mask:0xf bank_mask:0xf// 000000008B44: 7E2402FA FF00B14C
	v_perm_b32 v52, v18, v76, v17                              // 000000008B4C: D1ED0034 04469912
	v_mov_b32_dpp v18, v77 quad_perm:[1,0,3,2] row_mask:0xf bank_mask:0xf// 000000008B54: 7E2402FA FF00B14D
	v_perm_b32 v53, v18, v77, v17                              // 000000008B5C: D1ED0035 04469B12
	v_mov_b32_dpp v18, v78 quad_perm:[1,0,3,2] row_mask:0xf bank_mask:0xf// 000000008B64: 7E2402FA FF00B14E
	v_perm_b32 v54, v18, v78, v17                              // 000000008B6C: D1ED0036 04469D12
	v_mfma_f32_16x16x16_bf16 v[204:207], v[128:129], v[166:167], v[204:207]// 000000008B74: D3E100CC 07334D80
	ds_write_b32 v20, v52 offset:17408                         // 000000008B7C: D81A4400 00003414
	ds_write_b32 v20, v53 offset:17952                         // 000000008B84: D81A4620 00003514
	v_mfma_f32_16x16x16_bf16 v[208:211], v[130:131], v[166:167], v[208:211]// 000000008B8C: D3E100D0 07434D82
	v_mov_b32_dpp v18, v79 quad_perm:[1,0,3,2] row_mask:0xf bank_mask:0xf// 000000008B94: 7E2402FA FF00B14F
	v_perm_b32 v55, v18, v79, v17                              // 000000008B9C: D1ED0037 04469F12
	v_mov_b32_dpp v18, v80 quad_perm:[1,0,3,2] row_mask:0xf bank_mask:0xf// 000000008BA4: 7E2402FA FF00B150
	v_perm_b32 v56, v18, v80, v17                              // 000000008BAC: D1ED0038 0446A112
	v_mov_b32_dpp v18, v81 quad_perm:[1,0,3,2] row_mask:0xf bank_mask:0xf// 000000008BB4: 7E2402FA FF00B151
	v_perm_b32 v57, v18, v81, v17                              // 000000008BBC: D1ED0039 0446A312
	v_mfma_f32_16x16x16_bf16 v[212:215], v[124:125], v[168:169], v[212:215]// 000000008BC4: D3E100D4 0753517C
	ds_write_b32 v20, v54 offset:19712                         // 000000008BCC: D81A4D00 00003614
	ds_write_b32 v20, v55 offset:20256                         // 000000008BD4: D81A4F20 00003714
	v_mfma_f32_16x16x16_bf16 v[216:219], v[126:127], v[168:169], v[216:219]// 000000008BDC: D3E100D8 0763517E
	v_subrev_f32_dpp v88, v177, v88 quad_perm:[0,0,0,0] row_mask:0xf bank_mask:0xf// 000000008BE4: 06B0B0FA FF0000B1
	v_subrev_f32_dpp v89, v177, v89 quad_perm:[1,1,1,1] row_mask:0xf bank_mask:0xf// 000000008BEC: 06B2B2FA FF0055B1
	v_subrev_f32_dpp v90, v177, v90 quad_perm:[2,2,2,2] row_mask:0xf bank_mask:0xf// 000000008BF4: 06B4B4FA FF00AAB1
	v_subrev_f32_dpp v91, v177, v91 quad_perm:[3,3,3,3] row_mask:0xf bank_mask:0xf// 000000008BFC: 06B6B6FA FF00FFB1
	v_subrev_f32_dpp v92, v177, v92 quad_perm:[0,0,0,0] row_mask:0xf bank_mask:0xf// 000000008C04: 06B8B8FA FF0000B1
	v_subrev_f32_dpp v93, v177, v93 quad_perm:[1,1,1,1] row_mask:0xf bank_mask:0xf// 000000008C0C: 06BABAFA FF0055B1
	v_mfma_f32_16x16x16_bf16 v[220:223], v[128:129], v[168:169], v[220:223]// 000000008C14: D3E100DC 07735180
	ds_write_b32 v20, v56 offset:22016                         // 000000008C1C: D81A5600 00003814
	ds_write_b32 v20, v57 offset:22560                         // 000000008C24: D81A5820 00003914
	v_mfma_f32_16x16x16_bf16 v[224:227], v[130:131], v[168:169], v[224:227]// 000000008C2C: D3E100E0 07835182
	v_subrev_f32_dpp v94, v177, v94 quad_perm:[2,2,2,2] row_mask:0xf bank_mask:0xf// 000000008C34: 06BCBCFA FF00AAB1
	v_subrev_f32_dpp v95, v177, v95 quad_perm:[3,3,3,3] row_mask:0xf bank_mask:0xf// 000000008C3C: 06BEBEFA FF00FFB1
	v_subrev_f32_dpp v96, v177, v96 quad_perm:[0,0,0,0] row_mask:0xf bank_mask:0xf// 000000008C44: 06C0C0FA FF0000B1
	v_subrev_f32_dpp v97, v177, v97 quad_perm:[1,1,1,1] row_mask:0xf bank_mask:0xf// 000000008C4C: 06C2C2FA FF0055B1
	v_subrev_f32_dpp v98, v177, v98 quad_perm:[2,2,2,2] row_mask:0xf bank_mask:0xf// 000000008C54: 06C4C4FA FF00AAB1
	v_subrev_f32_dpp v99, v177, v99 quad_perm:[3,3,3,3] row_mask:0xf bank_mask:0xf// 000000008C5C: 06C6C6FA FF00FFB1
	v_mfma_f32_16x16x16_bf16 v[180:183], v[132:133], v[170:171], v[180:183]// 000000008C64: D3E100B4 06D35584
	v_mul_f32_e32 v88, v64, v88                                // 000000008C6C: 0AB0B140
	v_mul_f32_e32 v89, v65, v89                                // 000000008C70: 0AB2B341
	v_mul_f32_e32 v90, v66, v90                                // 000000008C74: 0AB4B542
	v_mul_f32_e32 v91, v67, v91                                // 000000008C78: 0AB6B743
	v_mul_f32_e32 v92, v68, v92                                // 000000008C7C: 0AB8B944
	v_mul_f32_e32 v93, v69, v93                                // 000000008C80: 0ABABB45
	v_mfma_f32_16x16x16_bf16 v[184:187], v[134:135], v[170:171], v[184:187]// 000000008C84: D3E100B8 06E35586
	v_mul_f32_e32 v94, v70, v94                                // 000000008C8C: 0ABCBD46
	v_mul_f32_e32 v95, v71, v95                                // 000000008C90: 0ABEBF47
	v_mul_f32_e32 v96, v72, v96                                // 000000008C94: 0AC0C148
	v_mul_f32_e32 v97, v73, v97                                // 000000008C98: 0AC2C349
	v_mul_f32_e32 v98, v74, v98                                // 000000008C9C: 0AC4C54A
	v_mul_f32_e32 v99, v75, v99                                // 000000008CA0: 0AC6C74B
	v_mfma_f32_16x16x16_bf16 v[188:191], v[136:137], v[170:171], v[188:191]// 000000008CA4: D3E100BC 06F35588
	v_cmp_u_f32_e64 s[78:79], v88, v88                         // 000000008CAC: D048004E 0002B158
	v_add3_u32 v228, v88, v231, 1                              // 000000008CB4: D1FF00E4 0207CF58
	v_cndmask_b32_e64 v32, v228, v230, s[78:79]                // 000000008CBC: D1000020 013BCDE4
	v_cmp_u_f32_e64 s[78:79], v89, v89                         // 000000008CC4: D048004E 0002B359
	v_add3_u32 v228, v89, v231, 1                              // 000000008CCC: D1FF00E4 0207CF59
	v_cndmask_b32_e64 v33, v228, v230, s[78:79]                // 000000008CD4: D1000021 013BCDE4
	v_perm_b32 v82, v33, v32, s64                              // 000000008CDC: D1ED0052 01024121
	v_cmp_u_f32_e64 s[78:79], v90, v90                         // 000000008CE4: D048004E 0002B55A
	v_add3_u32 v228, v90, v231, 1                              // 000000008CEC: D1FF00E4 0207CF5A
	v_cndmask_b32_e64 v32, v228, v230, s[78:79]                // 000000008CF4: D1000020 013BCDE4
	v_cmp_u_f32_e64 s[78:79], v91, v91                         // 000000008CFC: D048004E 0002B75B
	v_add3_u32 v228, v91, v231, 1                              // 000000008D04: D1FF00E4 0207CF5B
	v_cndmask_b32_e64 v33, v228, v230, s[78:79]                // 000000008D0C: D1000021 013BCDE4
	v_perm_b32 v83, v33, v32, s64                              // 000000008D14: D1ED0053 01024121
	v_cmp_u_f32_e64 s[78:79], v92, v92                         // 000000008D1C: D048004E 0002B95C
	v_add3_u32 v228, v92, v231, 1                              // 000000008D24: D1FF00E4 0207CF5C
	v_cndmask_b32_e64 v32, v228, v230, s[78:79]                // 000000008D2C: D1000020 013BCDE4
	v_cmp_u_f32_e64 s[78:79], v93, v93                         // 000000008D34: D048004E 0002BB5D
	v_add3_u32 v228, v93, v231, 1                              // 000000008D3C: D1FF00E4 0207CF5D
	v_cndmask_b32_e64 v33, v228, v230, s[78:79]                // 000000008D44: D1000021 013BCDE4
	v_perm_b32 v84, v33, v32, s64                              // 000000008D4C: D1ED0054 01024121
	v_cmp_u_f32_e64 s[78:79], v94, v94                         // 000000008D54: D048004E 0002BD5E
	v_add3_u32 v228, v94, v231, 1                              // 000000008D5C: D1FF00E4 0207CF5E
	v_cndmask_b32_e64 v32, v228, v230, s[78:79]                // 000000008D64: D1000020 013BCDE4
	v_cmp_u_f32_e64 s[78:79], v95, v95                         // 000000008D6C: D048004E 0002BF5F
	v_add3_u32 v228, v95, v231, 1                              // 000000008D74: D1FF00E4 0207CF5F
	v_cndmask_b32_e64 v33, v228, v230, s[78:79]                // 000000008D7C: D1000021 013BCDE4
	v_perm_b32 v85, v33, v32, s64                              // 000000008D84: D1ED0055 01024121
	v_cmp_u_f32_e64 s[78:79], v96, v96                         // 000000008D8C: D048004E 0002C160
	v_add3_u32 v228, v96, v231, 1                              // 000000008D94: D1FF00E4 0207CF60
	v_cndmask_b32_e64 v32, v228, v230, s[78:79]                // 000000008D9C: D1000020 013BCDE4
	v_cmp_u_f32_e64 s[78:79], v97, v97                         // 000000008DA4: D048004E 0002C361
	v_add3_u32 v228, v97, v231, 1                              // 000000008DAC: D1FF00E4 0207CF61
	v_cndmask_b32_e64 v33, v228, v230, s[78:79]                // 000000008DB4: D1000021 013BCDE4
	v_perm_b32 v86, v33, v32, s64                              // 000000008DBC: D1ED0056 01024121
	v_cmp_u_f32_e64 s[78:79], v98, v98                         // 000000008DC4: D048004E 0002C562
	v_add3_u32 v228, v98, v231, 1                              // 000000008DCC: D1FF00E4 0207CF62
	v_cndmask_b32_e64 v32, v228, v230, s[78:79]                // 000000008DD4: D1000020 013BCDE4
	v_cmp_u_f32_e64 s[78:79], v99, v99                         // 000000008DDC: D048004E 0002C763
	v_add3_u32 v228, v99, v231, 1                              // 000000008DE4: D1FF00E4 0207CF63
	v_cndmask_b32_e64 v33, v228, v230, s[78:79]                // 000000008DEC: D1000021 013BCDE4
	v_perm_b32 v87, v33, v32, s64                              // 000000008DF4: D1ED0057 01024121
	v_mfma_f32_16x16x16_bf16 v[192:195], v[138:139], v[170:171], v[192:195]// 000000008DFC: D3E100C0 0703558A
	v_mov_b32_dpp v18, v82 quad_perm:[1,0,3,2] row_mask:0xf bank_mask:0xf// 000000008E04: 7E2402FA FF00B152
	v_perm_b32 v58, v18, v82, v17                              // 000000008E0C: D1ED003A 0446A512
	v_mov_b32_dpp v18, v83 quad_perm:[1,0,3,2] row_mask:0xf bank_mask:0xf// 000000008E14: 7E2402FA FF00B153
	v_perm_b32 v59, v18, v83, v17                              // 000000008E1C: D1ED003B 0446A712
	v_mov_b32_dpp v18, v84 quad_perm:[1,0,3,2] row_mask:0xf bank_mask:0xf// 000000008E24: 7E2402FA FF00B154
	v_perm_b32 v60, v18, v84, v17                              // 000000008E2C: D1ED003C 0446A912
	v_mfma_f32_16x16x16_bf16 v[196:199], v[132:133], v[172:173], v[196:199]// 000000008E34: D3E100C4 07135984
	ds_write_b32 v20, v58 offset:24320                         // 000000008E3C: D81A5F00 00003A14
	ds_write_b32 v20, v59 offset:24864                         // 000000008E44: D81A6120 00003B14
	v_mfma_f32_16x16x16_bf16 v[200:203], v[134:135], v[172:173], v[200:203]// 000000008E4C: D3E100C8 07235986
	v_mov_b32_dpp v18, v85 quad_perm:[1,0,3,2] row_mask:0xf bank_mask:0xf// 000000008E54: 7E2402FA FF00B155
	v_perm_b32 v61, v18, v85, v17                              // 000000008E5C: D1ED003D 0446AB12
	v_mov_b32_dpp v18, v86 quad_perm:[1,0,3,2] row_mask:0xf bank_mask:0xf// 000000008E64: 7E2402FA FF00B156
	v_perm_b32 v62, v18, v86, v17                              // 000000008E6C: D1ED003E 0446AD12
	v_mov_b32_dpp v18, v87 quad_perm:[1,0,3,2] row_mask:0xf bank_mask:0xf// 000000008E74: 7E2402FA FF00B157
	v_perm_b32 v63, v18, v87, v17                              // 000000008E7C: D1ED003F 0446AF12
	v_mfma_f32_16x16x16_bf16 v[204:207], v[136:137], v[172:173], v[204:207]// 000000008E84: D3E100CC 07335988
	ds_write_b32 v20, v60 offset:26624                         // 000000008E8C: D81A6800 00003C14
	ds_write_b32 v20, v61 offset:27168                         // 000000008E94: D81A6A20 00003D14
	ds_write_b32 v20, v62 offset:28928                         // 000000008E9C: D81A7100 00003E14
	ds_write_b32 v20, v63 offset:29472                         // 000000008EA4: D81A7320 00003F14
	v_mfma_f32_16x16x16_bf16 v[208:211], v[138:139], v[172:173], v[208:211]// 000000008EAC: D3E100D0 0743598A
	v_mfma_f32_16x16x16_bf16 v[212:215], v[132:133], v[174:175], v[212:215]// 000000008EB4: D3E100D4 07535D84
	ds_write_b32 v15, v100 offset:4352                         // 000000008EBC: D81A1100 0000640F
	ds_write_b32 v15, v101 offset:5408                         // 000000008EC4: D81A1520 0000650F
	v_mfma_f32_16x16x16_bf16 v[216:219], v[134:135], v[174:175], v[216:219]// 000000008ECC: D3E100D8 07635D86
	v_mfma_f32_16x16x16_bf16 v[220:223], v[136:137], v[174:175], v[220:223]// 000000008ED4: D3E100DC 07735D88
	ds_write_b32 v15, v102 offset:6528                         // 000000008EDC: D81A1980 0000660F
	ds_write_b32 v15, v103 offset:7584                         // 000000008EE4: D81A1DA0 0000670F
	v_mfma_f32_16x16x16_bf16 v[224:227], v[138:139], v[174:175], v[224:227]// 000000008EEC: D3E100E0 07835D8A
	s_nop 0                                                    // 000000008EF4: BF800000
	s_nop 0                                                    // 000000008EF8: BF800000
	s_nop 0                                                    // 000000008EFC: BF800000
	s_barrier                                                  // 000000008F00: BF8A0000
	v_mfma_f32_16x16x16_bf16 a[112:115], a[96:97], v[76:77], a[112:115]// 000000008F04: D3E18070 0DC29960
	ds_read_b32 v140, v23 offset:39936                         // 000000008F0C: D86C9C00 8C000017
	ds_read_b32 v144, v23 offset:40000                         // 000000008F14: D86C9C40 90000017
	ds_read_b32 v176, v23 offset:40192                         // 000000008F1C: D86C9D00 B0000017
	ds_read_b32 v177, v23 offset:40256                         // 000000008F24: D86C9D40 B1000017
	v_mfma_f32_16x16x16_bf16 a[116:119], a[98:99], v[76:77], a[116:119]// 000000008F2C: D3E18074 0DD29962
	buffer_atomic_add_f32 v156, v6, s[32:35], 0 idxen          // 000000008F34: E1342000 80089C06
	v_mfma_f32_16x16x16_bf16 a[120:123], a[100:101], v[76:77], a[120:123]// 000000008F3C: D3E18078 0DE29964
	s_waitcnt lgkmcnt(8)                                       // 000000008F44: BF8CC87F
	s_barrier                                                  // 000000008F48: BF8A0000
	v_mfma_f32_16x16x16_bf16 a[124:127], a[102:103], v[76:77], a[124:127]// 000000008F4C: D3E1807C 0DF29966
	v_mfma_f32_16x16x16_bf16 a[128:131], a[96:97], v[78:79], a[128:131]// 000000008F54: D3E18080 0E029D60
	ds_read_b128 v[52:55], v19 offset:17408                    // 000000008F5C: D9FE4400 34000013
	v_mfma_f32_16x16x16_bf16 a[132:135], a[98:99], v[78:79], a[132:135]// 000000008F64: D3E18084 0E129D62
	v_mfma_f32_16x16x16_bf16 a[136:139], a[100:101], v[78:79], a[136:139]// 000000008F6C: D3E18088 0E229D64
	ds_read_b128 v[56:59], v19 offset:18560                    // 000000008F74: D9FE4880 38000013
	v_mfma_f32_16x16x16_bf16 a[140:143], a[102:103], v[78:79], a[140:143]// 000000008F7C: D3E1808C 0E329D66
	buffer_atomic_add_f32 v157, v7, s[32:35], 0 idxen          // 000000008F84: E1342000 80089D07
	v_mfma_f32_16x16x16_bf16 a[144:147], a[96:97], v[80:81], a[144:147]// 000000008F8C: D3E18090 0E42A160
	ds_read_b128 v[60:63], v19 offset:19712                    // 000000008F94: D9FE4D00 3C000013
	v_mfma_f32_16x16x16_bf16 a[148:151], a[98:99], v[80:81], a[148:151]// 000000008F9C: D3E18094 0E52A162
	v_mfma_f32_16x16x16_bf16 a[152:155], a[100:101], v[80:81], a[152:155]// 000000008FA4: D3E18098 0E62A164
	ds_read_b128 v[64:67], v19 offset:20864                    // 000000008FAC: D9FE5180 40000013
	v_mfma_f32_16x16x16_bf16 a[156:159], a[102:103], v[80:81], a[156:159]// 000000008FB4: D3E1809C 0E72A166
	v_mfma_f32_16x16x16_bf16 a[112:115], a[104:105], v[82:83], a[112:115]// 000000008FBC: D3E18070 0DC2A568
	ds_read_b128 v[68:71], v19 offset:22016                    // 000000008FC4: D9FE5600 44000013
	v_mfma_f32_16x16x16_bf16 a[116:119], a[106:107], v[82:83], a[116:119]// 000000008FCC: D3E18074 0DD2A56A
	buffer_atomic_add_f32 v158, v6, s[32:35], 0 idxen offset:128// 000000008FD4: E1342080 80089E06
	v_mfma_f32_16x16x16_bf16 a[120:123], a[108:109], v[82:83], a[120:123]// 000000008FDC: D3E18078 0DE2A56C
	ds_read_b128 v[72:75], v19 offset:23168                    // 000000008FE4: D9FE5A80 48000013
	v_mfma_f32_16x16x16_bf16 a[124:127], a[110:111], v[82:83], a[124:127]// 000000008FEC: D3E1807C 0DF2A56E
	v_mfma_f32_16x16x16_bf16 a[128:131], a[104:105], v[84:85], a[128:131]// 000000008FF4: D3E18080 0E02A968
	ds_write_b32 v15, v104 offset:13056                        // 000000008FFC: D81A3300 0000680F
	v_mfma_f32_16x16x16_bf16 a[132:135], a[106:107], v[84:85], a[132:135]// 000000009004: D3E18084 0E12A96A
	v_mfma_f32_16x16x16_bf16 a[136:139], a[108:109], v[84:85], a[136:139]// 00000000900C: D3E18088 0E22A96C
	ds_write_b32 v15, v105 offset:14112                        // 000000009014: D81A3720 0000690F
	v_mfma_f32_16x16x16_bf16 a[140:143], a[110:111], v[84:85], a[140:143]// 00000000901C: D3E1808C 0E32A96E
	buffer_atomic_add_f32 v159, v7, s[32:35], 0 idxen offset:128// 000000009024: E1342080 80089F07
	v_mfma_f32_16x16x16_bf16 a[144:147], a[104:105], v[86:87], a[144:147]// 00000000902C: D3E18090 0E42AD68
	ds_write_b32 v15, v106 offset:15232                        // 000000009034: D81A3B80 00006A0F
	v_mfma_f32_16x16x16_bf16 a[148:151], a[106:107], v[86:87], a[148:151]// 00000000903C: D3E18094 0E52AD6A
	v_mfma_f32_16x16x16_bf16 a[152:155], a[108:109], v[86:87], a[152:155]// 000000009044: D3E18098 0E62AD6C
	ds_write_b32 v15, v107 offset:16288                        // 00000000904C: D81A3FA0 00006B0F
	v_mfma_f32_16x16x16_bf16 a[156:159], a[110:111], v[86:87], a[156:159]// 000000009054: D3E1809C 0E72AD6E
	s_waitcnt vmcnt(8) lgkmcnt(4)                              // 00000000905C: BF8C0478
	s_barrier                                                  // 000000009060: BF8A0000
	v_mfma_f32_16x16x16_bf16 v[148:151], v[52:53], a[24:25], 0 // 000000009064: D3E10094 12023134
	ds_read_b128 a[96:99], v12                                 // 00000000906C: DBFE0000 6000000C
	buffer_load_dword v40, v1, s[8:11], 0 idxen                // 000000009074: E0502000 80022801
	v_mfma_f32_16x16x16_bf16 v[148:151], v[54:55], a[28:29], v[148:151]// 00000000907C: D3E10094 16523936
	v_mul_f32_e32 v140, s48, v140                              // 000000009084: 0B191830
	v_mul_f32_e32 v144, s48, v144                              // 000000009088: 0B212030
	s_nop 0                                                    // 00000000908C: BF800000
	v_mfma_f32_16x16x16_bf16 v[148:151], v[56:57], a[32:33], v[148:151]// 000000009090: D3E10094 16524138
	ds_read_b128 a[100:103], v12 offset:512                    // 000000009098: DBFE0200 6400000C
	buffer_load_dword v41, v2, s[8:11], 0 idxen                // 0000000090A0: E0502000 80022902
	v_mfma_f32_16x16x16_bf16 v[148:151], v[58:59], a[36:37], v[148:151]// 0000000090A8: D3E10094 1652493A
	v_mfma_f32_16x16x16_bf16 v[148:151], v[60:61], a[40:41], v[148:151]// 0000000090B0: D3E10094 1652513C
	ds_read_b128 a[104:107], v12 offset:2176                   // 0000000090B8: DBFE0880 6800000C
	buffer_load_dword v42, v3, s[8:11], 0 idxen                // 0000000090C0: E0502000 80022A03
	v_mfma_f32_16x16x16_bf16 v[148:151], v[62:63], a[44:45], v[148:151]// 0000000090C8: D3E10094 1652593E
	v_perm_b32 v100, v37, v36, s63                             // 0000000090D0: D1ED0064 00FE4925
	v_perm_b32 v101, v37, v36, s64                             // 0000000090D8: D1ED0065 01024925
	v_mfma_f32_16x16x16_bf16 v[148:151], v[64:65], a[48:49], v[148:151]// 0000000090E0: D3E10094 16526140
	ds_read_b128 a[108:111], v12 offset:2688                   // 0000000090E8: DBFE0A80 6C00000C
	buffer_load_dword v43, v4, s[8:11], 0 idxen                // 0000000090F0: E0502000 80022B04
	v_mfma_f32_16x16x16_bf16 v[148:151], v[66:67], a[52:53], v[148:151]// 0000000090F8: D3E10094 16526942
	v_perm_b32 v102, v39, v38, s63                             // 000000009100: D1ED0066 00FE4D27
	v_perm_b32 v103, v39, v38, s64                             // 000000009108: D1ED0067 01024D27
	v_mfma_f32_16x16x16_bf16 v[148:151], v[68:69], a[56:57], v[148:151]// 000000009110: D3E10094 16527144
	ds_read_b128 v[108:111], v12 offset:8704                   // 000000009118: D9FE2200 6C00000C
	buffer_load_dword v48, v232, s[20:23], 0 idxen             // 000000009120: E0502000 800530E8
	v_mfma_f32_16x16x16_bf16 v[148:151], v[70:71], a[60:61], v[148:151]// 000000009128: D3E10094 16527946
	v_perm_b32 v104, v45, v44, s63                             // 000000009130: D1ED0068 00FE592D
	v_perm_b32 v105, v45, v44, s64                             // 000000009138: D1ED0069 0102592D
	v_mfma_f32_16x16x16_bf16 v[148:151], v[72:73], a[64:65], v[148:151]// 000000009140: D3E10094 16528148
	ds_read_b128 v[112:115], v12 offset:9216                   // 000000009148: D9FE2400 7000000C
	buffer_load_dword v49, v233, s[20:23], 0 idxen             // 000000009150: E0502000 800531E9
	v_mfma_f32_16x16x16_bf16 v[148:151], v[74:75], a[68:69], v[148:151]// 000000009158: D3E10094 1652894A
	v_perm_b32 v106, v47, v46, s63                             // 000000009160: D1ED006A 00FE5D2F
	v_perm_b32 v107, v47, v46, s64                             // 000000009168: D1ED006B 01025D2F
	v_mfma_f32_16x16x16_bf16 v[152:155], v[52:53], a[26:27], 0 // 000000009170: D3E10098 12023534
	ds_read_b128 v[116:119], v12 offset:10880                  // 000000009178: D9FE2A80 7400000C
	buffer_load_dword v50, v234, s[20:23], 0 idxen             // 000000009180: E0502000 800532EA
	v_mfma_f32_16x16x16_bf16 v[152:155], v[54:55], a[30:31], v[152:155]// 000000009188: D3E10098 16623D36
	v_mov_b32_dpp v143, v140 quad_perm:[3,3,3,3] row_mask:0xf bank_mask:0xf// 000000009190: 7F1E02FA FF00FF8C
	v_mov_b32_dpp v142, v140 quad_perm:[2,2,2,2] row_mask:0xf bank_mask:0xf// 000000009198: 7F1C02FA FF00AA8C
	v_mov_b32_dpp v141, v140 quad_perm:[1,1,1,1] row_mask:0xf bank_mask:0xf// 0000000091A0: 7F1A02FA FF00558C
	v_mov_b32_dpp v140, v140 quad_perm:[0,0,0,0] row_mask:0xf bank_mask:0xf// 0000000091A8: 7F1802FA FF00008C
	v_mfma_f32_16x16x16_bf16 v[152:155], v[56:57], a[34:35], v[152:155]// 0000000091B0: D3E10098 16624538
	ds_read_b128 v[120:123], v12 offset:11392                  // 0000000091B8: D9FE2C80 7800000C
	buffer_load_dword v51, v235, s[20:23], 0 idxen             // 0000000091C0: E0502000 800533EB
	v_mfma_f32_16x16x16_bf16 v[152:155], v[58:59], a[38:39], v[152:155]// 0000000091C8: D3E10098 16624D3A
	v_mov_b32_dpp v147, v144 quad_perm:[3,3,3,3] row_mask:0xf bank_mask:0xf// 0000000091D0: 7F2602FA FF00FF90
	v_mov_b32_dpp v146, v144 quad_perm:[2,2,2,2] row_mask:0xf bank_mask:0xf// 0000000091D8: 7F2402FA FF00AA90
	v_mov_b32_dpp v145, v144 quad_perm:[1,1,1,1] row_mask:0xf bank_mask:0xf// 0000000091E0: 7F2202FA FF005590
	v_mov_b32_dpp v144, v144 quad_perm:[0,0,0,0] row_mask:0xf bank_mask:0xf// 0000000091E8: 7F2002FA FF000090
	s_add_u32 s60, 0x80, s59                                   // 0000000091F0: 803C3BFF 00000080
	v_mfma_f32_16x16x16_bf16 v[152:155], v[60:61], a[42:43], v[152:155]// 0000000091F8: D3E10098 1662553C
	buffer_load_dword v11, s[24:27], 0 idxen lds               // 000000009200: E0512000 8006000B
	v_mfma_f32_16x16x16_bf16 v[152:155], v[62:63], a[46:47], v[152:155]// 000000009208: D3E10098 16625D3E
	s_cmp_lt_u32 s60, s58                                      // 000000009210: BF0A3A3C
	s_cselect_b32 s68, s68, 0                                  // 000000009214: 85448044
	s_cselect_b32 s100, s100, 0                                // 000000009218: 85648064
	s_cselect_b32 s69, s69, 0                                  // 00000000921C: 85458045
	v_mfma_f32_16x16x16_bf16 v[152:155], v[64:65], a[50:51], v[152:155]// 000000009220: D3E10098 16626540
	v_add_u32_e32 v1, s68, v1                                  // 000000009228: 68020244
	v_add_u32_e32 v2, s68, v2                                  // 00000000922C: 68040444
	v_add_u32_e32 v3, s68, v3                                  // 000000009230: 68060644
	v_add_u32_e32 v4, s68, v4                                  // 000000009234: 68080844
	v_mfma_f32_16x16x16_bf16 v[152:155], v[66:67], a[54:55], v[152:155]// 000000009238: D3E10098 16626D42
	v_add_u32_e32 v232, s100, v232                             // 000000009240: 69D1D064
	v_add_u32_e32 v233, s100, v233                             // 000000009244: 69D3D264
	v_add_u32_e32 v234, s100, v234                             // 000000009248: 69D5D464
	v_add_u32_e32 v235, s100, v235                             // 00000000924C: 69D7D664
	v_mfma_f32_16x16x16_bf16 v[152:155], v[68:69], a[58:59], v[152:155]// 000000009250: D3E10098 16627544
	s_mov_b32 m0, s80                                          // 000000009258: BEFC0050
	v_add_u32_e32 v11, s69, v11                                // 00000000925C: 68161645
	v_mfma_f32_16x16x16_bf16 v[152:155], v[70:71], a[62:63], v[152:155]// 000000009260: D3E10098 16627D46
	s_cmp_ge_u32 s59, s73                                      // 000000009268: BF09493B
	s_cselect_b32 s66, s67, s66                                // 00000000926C: 85424243
	v_mfma_f32_16x16x16_bf16 v[152:155], v[72:73], a[66:67], v[152:155]// 000000009270: D3E10098 16628548
	s_addk_i32 s59, 0x20                                       // 000000009278: B73B0020
	s_nop 0                                                    // 00000000927C: BF800000
	s_cmp_lt_i32 s59, s58                                      // 000000009280: BF043A3B
	v_mfma_f32_16x16x16_bf16 v[152:155], v[74:75], a[70:71], v[152:155]// 000000009284: D3E10098 16628D4A
	s_cbranch_scc0 label_104F                                  // 00000000928C: BF84FB19
	s_waitcnt lgkmcnt(4)                                       // 000000009290: BF8CC47F
	s_barrier                                                  // 000000009294: BF8A0000
	v_mfma_f32_16x16x16_bf16 v[52:55], a[96:97], a[0:1], 0     // 000000009298: D3E10034 1A020160
	v_mul_f32_e32 v148, s47, v148                              // 0000000092A0: 0B29282F
	v_mul_f32_e32 v149, s47, v149                              // 0000000092A4: 0B2B2A2F
	v_mfma_f32_16x16x16_bf16 v[52:55], a[98:99], a[2:3], v[52:55]// 0000000092A8: D3E10034 1CD20562
	ds_write_b32 v13, v44 offset:8704                          // 0000000092B0: D81A2200 00002C0D
	ds_write_b32 v13, v45 offset:9760                          // 0000000092B8: D81A2620 00002D0D
	v_mfma_f32_16x16x16_bf16 v[52:55], a[100:101], a[4:5], v[52:55]// 0000000092C0: D3E10034 1CD20964
	v_mul_f32_e32 v150, s47, v150                              // 0000000092C8: 0B2D2C2F
	v_mul_f32_e32 v151, s47, v151                              // 0000000092CC: 0B2F2E2F
	v_mfma_f32_16x16x16_bf16 v[52:55], a[102:103], a[6:7], v[52:55]// 0000000092D0: D3E10034 1CD20D66
	ds_write_b32 v13, v46 offset:10880                         // 0000000092D8: D81A2A80 00002E0D
	ds_write_b32 v13, v47 offset:11936                         // 0000000092E0: D81A2EA0 00002F0D
	v_mfma_f32_16x16x16_bf16 v[56:59], a[96:97], a[8:9], 0     // 0000000092E8: D3E10038 1A021160
	v_mul_f32_e32 v152, s47, v152                              // 0000000092F0: 0B31302F
	v_mul_f32_e32 v153, s47, v153                              // 0000000092F4: 0B33322F
	v_mfma_f32_16x16x16_bf16 v[56:59], a[98:99], a[10:11], v[56:59]// 0000000092F8: D3E10038 1CE21562
	ds_write_b64 v22, v[148:149] offset:31232                  // 000000009300: D89A7A00 00009416
	v_mfma_f32_16x16x16_bf16 v[56:59], a[100:101], a[12:13], v[56:59]// 000000009308: D3E10038 1CE21964
	v_mul_f32_e32 v154, s47, v154                              // 000000009310: 0B35342F
	v_mul_f32_e32 v155, s47, v155                              // 000000009314: 0B37362F
	v_mfma_f32_16x16x16_bf16 v[56:59], a[102:103], a[14:15], v[56:59]// 000000009318: D3E10038 1CE21D66
	ds_write_b64 v22, v[150:151] offset:31744                  // 000000009320: D89A7C00 00009616
	v_mfma_f32_16x16x16_bf16 v[60:63], a[96:97], a[16:17], 0   // 000000009328: D3E1003C 1A022160
	buffer_atomic_add_f32 v160, v8, s[32:35], 0 idxen          // 000000009330: E1342000 8008A008
	v_mfma_f32_16x16x16_bf16 v[60:63], a[98:99], a[18:19], v[60:63]// 000000009338: D3E1003C 1CF22562
	ds_write_b64 v22, v[152:153] offset:32256                  // 000000009340: D89A7E00 00009816
	v_mfma_f32_16x16x16_bf16 v[60:63], a[100:101], a[20:21], v[60:63]// 000000009348: D3E1003C 1CF22964
	v_mfma_f32_16x16x16_bf16 v[60:63], a[102:103], a[22:23], v[60:63]// 000000009350: D3E1003C 1CF22D66
	ds_write_b64 v22, v[154:155] offset:32768                  // 000000009358: D89A8000 00009A16
	v_mfma_f32_16x16x16_bf16 v[64:67], a[104:105], a[0:1], 0   // 000000009360: D3E10040 1A020168
	buffer_atomic_add_f32 v161, v9, s[32:35], 0 idxen          // 000000009368: E1342000 8008A109
	v_mfma_f32_16x16x16_bf16 v[64:67], a[106:107], a[2:3], v[64:67]// 000000009370: D3E10040 1D02056A
	ds_read_b128 v[124:127], v14 offset:13056                  // 000000009378: D9FE3300 7C00000E
	ds_write_b32 v13, v36                                      // 000000009380: D81A0000 0000240D
	v_mfma_f32_16x16x16_bf16 v[64:67], a[108:109], a[4:5], v[64:67]// 000000009388: D3E10040 1D02096C
	v_mfma_f32_16x16x16_bf16 v[64:67], a[110:111], a[6:7], v[64:67]// 000000009390: D3E10040 1D020D6E
	v_mfma_f32_16x16x16_bf16 v[68:71], a[104:105], a[8:9], 0   // 000000009398: D3E10044 1A021168
	ds_read_b128 v[128:131], v14 offset:13568                  // 0000000093A0: D9FE3500 8000000E
	ds_write_b32 v13, v37 offset:1056                          // 0000000093A8: D81A0420 0000250D
	v_mfma_f32_16x16x16_bf16 v[68:71], a[106:107], a[10:11], v[68:71]// 0000000093B0: D3E10044 1D12156A
	buffer_atomic_add_f32 v162, v8, s[32:35], 0 idxen offset:128// 0000000093B8: E1342080 8008A208
	v_mfma_f32_16x16x16_bf16 v[68:71], a[108:109], a[12:13], v[68:71]// 0000000093C0: D3E10044 1D12196C
	v_mfma_f32_16x16x16_bf16 v[68:71], a[110:111], a[14:15], v[68:71]// 0000000093C8: D3E10044 1D121D6E
	ds_read_b128 v[132:135], v14 offset:15232                  // 0000000093D0: D9FE3B80 8400000E
	ds_write_b32 v13, v38 offset:2176                          // 0000000093D8: D81A0880 0000260D
	v_mfma_f32_16x16x16_bf16 v[72:75], a[104:105], a[16:17], 0 // 0000000093E0: D3E10048 1A022168
	v_mfma_f32_16x16x16_bf16 v[72:75], a[106:107], a[18:19], v[72:75]// 0000000093E8: D3E10048 1D22256A
	buffer_atomic_add_f32 v163, v9, s[32:35], 0 idxen offset:128// 0000000093F0: E1342080 8008A309
	v_mfma_f32_16x16x16_bf16 v[72:75], a[108:109], a[20:21], v[72:75]// 0000000093F8: D3E10048 1D22296C
	ds_read_b128 v[136:139], v14 offset:15744                  // 000000009400: D9FE3D80 8800000E
	ds_write_b32 v13, v39 offset:3232                          // 000000009408: D81A0CA0 0000270D
	v_mfma_f32_16x16x16_bf16 v[72:75], a[110:111], a[22:23], v[72:75]// 000000009410: D3E10048 1D222D6E
	s_cmp_eq_i32 s82, 0                                        // 000000009418: BF008052
	s_cbranch_scc1 label_169C                                  // 00000000941C: BF8500F0
	s_cmp_lt_i32 s74, 6                                        // 000000009420: BF04864A
	s_cbranch_scc0 label_1623                                  // 000000009424: BF84007E
	s_lshl_b32 s60, s74, 5                                     // 000000009428: 8E3C854A
	s_lshl_b32 s61, 0, 4                                       // 00000000942C: 8E3D8480
	s_add_i32 s60, s60, s61                                    // 000000009430: 813C3D3C
	v_sub_i32 v32, v236, s60                                   // 000000009434: D29D0020 000079EC
	s_mov_b32 s61, 0                                           // 00000000943C: BEBD0080
	v_add_i32 v33, v32, s61                                    // 000000009440: D29C0021 00007B20
	v_cmp_gt_i32_e64 s[60:61], v33, 0                          // 000000009448: D0C4003C 00010121
	v_cmp_gt_i32_e64 s[70:71], v33, 1                          // 000000009450: D0C40046 00010321
	v_cndmask_b32_e64 v52, v52, v178, s[60:61]                 // 000000009458: D1000034 00F36534
	v_cndmask_b32_e64 v53, v53, v178, s[70:71]                 // 000000009460: D1000035 011B6535
	v_cmp_gt_i32_e64 s[60:61], v33, 2                          // 000000009468: D0C4003C 00010521
	v_cmp_gt_i32_e64 s[70:71], v33, 3                          // 000000009470: D0C40046 00010721
	v_cndmask_b32_e64 v54, v54, v178, s[60:61]                 // 000000009478: D1000036 00F36536
	v_cndmask_b32_e64 v55, v55, v178, s[70:71]                 // 000000009480: D1000037 011B6537
	s_mov_b32 s61, 64                                          // 000000009488: BEBD00C0
	v_add_i32 v33, v32, s61                                    // 00000000948C: D29C0021 00007B20
	v_cmp_gt_i32_e64 s[60:61], v33, 0                          // 000000009494: D0C4003C 00010121
	v_cmp_gt_i32_e64 s[70:71], v33, 1                          // 00000000949C: D0C40046 00010321
	v_cndmask_b32_e64 v56, v56, v178, s[60:61]                 // 0000000094A4: D1000038 00F36538
	v_cndmask_b32_e64 v57, v57, v178, s[70:71]                 // 0000000094AC: D1000039 011B6539
	v_cmp_gt_i32_e64 s[60:61], v33, 2                          // 0000000094B4: D0C4003C 00010521
	v_cmp_gt_i32_e64 s[70:71], v33, 3                          // 0000000094BC: D0C40046 00010721
	v_cndmask_b32_e64 v58, v58, v178, s[60:61]                 // 0000000094C4: D100003A 00F3653A
	v_cndmask_b32_e64 v59, v59, v178, s[70:71]                 // 0000000094CC: D100003B 011B653B
	s_mov_b32 s61, 0x80                                        // 0000000094D4: BEBD00FF 00000080
	v_add_i32 v33, v32, s61                                    // 0000000094DC: D29C0021 00007B20
	v_cmp_gt_i32_e64 s[60:61], v33, 0                          // 0000000094E4: D0C4003C 00010121
	v_cmp_gt_i32_e64 s[70:71], v33, 1                          // 0000000094EC: D0C40046 00010321
	v_cndmask_b32_e64 v60, v60, v178, s[60:61]                 // 0000000094F4: D100003C 00F3653C
	v_cndmask_b32_e64 v61, v61, v178, s[70:71]                 // 0000000094FC: D100003D 011B653D
	v_cmp_gt_i32_e64 s[60:61], v33, 2                          // 000000009504: D0C4003C 00010521
	v_cmp_gt_i32_e64 s[70:71], v33, 3                          // 00000000950C: D0C40046 00010721
	v_cndmask_b32_e64 v62, v62, v178, s[60:61]                 // 000000009514: D100003E 00F3653E
	v_cndmask_b32_e64 v63, v63, v178, s[70:71]                 // 00000000951C: D100003F 011B653F
	s_lshl_b32 s60, s74, 5                                     // 000000009524: 8E3C854A
	s_lshl_b32 s61, 1, 4                                       // 000000009528: 8E3D8481
	s_add_i32 s60, s60, s61                                    // 00000000952C: 813C3D3C
	v_sub_i32 v32, v236, s60                                   // 000000009530: D29D0020 000079EC
	s_mov_b32 s61, 0                                           // 000000009538: BEBD0080
	v_add_i32 v33, v32, s61                                    // 00000000953C: D29C0021 00007B20
	v_cmp_gt_i32_e64 s[60:61], v33, 0                          // 000000009544: D0C4003C 00010121
	v_cmp_gt_i32_e64 s[70:71], v33, 1                          // 00000000954C: D0C40046 00010321
	v_cndmask_b32_e64 v64, v64, v178, s[60:61]                 // 000000009554: D1000040 00F36540
	v_cndmask_b32_e64 v65, v65, v178, s[70:71]                 // 00000000955C: D1000041 011B6541
	v_cmp_gt_i32_e64 s[60:61], v33, 2                          // 000000009564: D0C4003C 00010521
	v_cmp_gt_i32_e64 s[70:71], v33, 3                          // 00000000956C: D0C40046 00010721
	v_cndmask_b32_e64 v66, v66, v178, s[60:61]                 // 000000009574: D1000042 00F36542
	v_cndmask_b32_e64 v67, v67, v178, s[70:71]                 // 00000000957C: D1000043 011B6543
	s_mov_b32 s61, 64                                          // 000000009584: BEBD00C0
	v_add_i32 v33, v32, s61                                    // 000000009588: D29C0021 00007B20
	v_cmp_gt_i32_e64 s[60:61], v33, 0                          // 000000009590: D0C4003C 00010121
	v_cmp_gt_i32_e64 s[70:71], v33, 1                          // 000000009598: D0C40046 00010321
	v_cndmask_b32_e64 v68, v68, v178, s[60:61]                 // 0000000095A0: D1000044 00F36544
	v_cndmask_b32_e64 v69, v69, v178, s[70:71]                 // 0000000095A8: D1000045 011B6545
	v_cmp_gt_i32_e64 s[60:61], v33, 2                          // 0000000095B0: D0C4003C 00010521
	v_cmp_gt_i32_e64 s[70:71], v33, 3                          // 0000000095B8: D0C40046 00010721
	v_cndmask_b32_e64 v70, v70, v178, s[60:61]                 // 0000000095C0: D1000046 00F36546
	v_cndmask_b32_e64 v71, v71, v178, s[70:71]                 // 0000000095C8: D1000047 011B6547
	s_mov_b32 s61, 0x80                                        // 0000000095D0: BEBD00FF 00000080
	v_add_i32 v33, v32, s61                                    // 0000000095D8: D29C0021 00007B20
	v_cmp_gt_i32_e64 s[60:61], v33, 0                          // 0000000095E0: D0C4003C 00010121
	v_cmp_gt_i32_e64 s[70:71], v33, 1                          // 0000000095E8: D0C40046 00010321
	v_cndmask_b32_e64 v72, v72, v178, s[60:61]                 // 0000000095F0: D1000048 00F36548
	v_cndmask_b32_e64 v73, v73, v178, s[70:71]                 // 0000000095F8: D1000049 011B6549
	v_cmp_gt_i32_e64 s[60:61], v33, 2                          // 000000009600: D0C4003C 00010521
	v_cmp_gt_i32_e64 s[70:71], v33, 3                          // 000000009608: D0C40046 00010721
	v_cndmask_b32_e64 v74, v74, v178, s[60:61]                 // 000000009610: D100004A 00F3654A
	v_cndmask_b32_e64 v75, v75, v178, s[70:71]                 // 000000009618: D100004B 011B654B

0000000000009620 <label_1623>:
	s_cmp_lt_i32 s84, 0xc0                                     // 000000009620: BF04FF54 000000C0
	s_cbranch_scc0 label_169C                                  // 000000009628: BF84006D
	s_cmp_le_i32 s84, 64                                       // 00000000962C: BF05C054
	s_cbranch_scc1 label_162F                                  // 000000009630: BF850007
	s_cmp_le_i32 s84, 0x80                                     // 000000009634: BF05FF54 00000080
	s_cbranch_scc1 label_1653                                  // 00000000963C: BF85001F
	s_cmp_lt_i32 s84, 0xc0                                     // 000000009640: BF04FF54 000000C0
	s_cbranch_scc1 label_1677                                  // 000000009648: BF850040
	s_branch label_169C                                        // 00000000964C: BF820064

0000000000009650 <label_162F>:
	s_mov_b32 s60, 0                                           // 000000009650: BEBC0080
	v_and_b32_e32 v32, 15, v0                                  // 000000009654: 2640008F
	v_add_u32_e64 v32, v32, s60                                // 000000009658: D1340020 00007920
	v_mul_i32_i24_e64 v33, s46, 16                             // 000000009660: D1060021 0001202E
	v_add_u32_e32 v32, v32, v33                                // 000000009668: 68404320
	v_cmp_lt_u32_e64 s[60:61], v32, s84                        // 00000000966C: D0C9003C 0000A920
	s_nop 1                                                    // 000000009674: BF800001
	v_cndmask_b32_e64 v52, v178, v52, s[60:61]                 // 000000009678: D1000034 00F269B2
	v_cndmask_b32_e64 v64, v178, v64, s[60:61]                 // 000000009680: D1000040 00F281B2
	v_cndmask_b32_e64 v53, v178, v53, s[60:61]                 // 000000009688: D1000035 00F26BB2
	v_cndmask_b32_e64 v65, v178, v65, s[60:61]                 // 000000009690: D1000041 00F283B2
	v_cndmask_b32_e64 v54, v178, v54, s[60:61]                 // 000000009698: D1000036 00F26DB2
	v_cndmask_b32_e64 v66, v178, v66, s[60:61]                 // 0000000096A0: D1000042 00F285B2
	v_cndmask_b32_e64 v55, v178, v55, s[60:61]                 // 0000000096A8: D1000037 00F26FB2
	v_cndmask_b32_e64 v67, v178, v67, s[60:61]                 // 0000000096B0: D1000043 00F287B2
	s_branch label_166E                                        // 0000000096B8: BF82001B

00000000000096bc <label_1653>:
	s_mov_b32 s60, 64                                          // 0000000096BC: BEBC00C0
	v_and_b32_e32 v32, 15, v0                                  // 0000000096C0: 2640008F
	v_add_u32_e64 v32, v32, s60                                // 0000000096C4: D1340020 00007920
	v_mul_i32_i24_e64 v33, s46, 16                             // 0000000096CC: D1060021 0001202E
	v_add_u32_e32 v32, v32, v33                                // 0000000096D4: 68404320
	v_cmp_lt_u32_e64 s[60:61], v32, s84                        // 0000000096D8: D0C9003C 0000A920
	s_nop 1                                                    // 0000000096E0: BF800001
	v_cndmask_b32_e64 v56, v178, v56, s[60:61]                 // 0000000096E4: D1000038 00F271B2
	v_cndmask_b32_e64 v68, v178, v68, s[60:61]                 // 0000000096EC: D1000044 00F289B2
	v_cndmask_b32_e64 v57, v178, v57, s[60:61]                 // 0000000096F4: D1000039 00F273B2
	v_cndmask_b32_e64 v69, v178, v69, s[60:61]                 // 0000000096FC: D1000045 00F28BB2
	v_cndmask_b32_e64 v58, v178, v58, s[60:61]                 // 000000009704: D100003A 00F275B2
	v_cndmask_b32_e64 v70, v178, v70, s[60:61]                 // 00000000970C: D1000046 00F28DB2
	v_cndmask_b32_e64 v59, v178, v59, s[60:61]                 // 000000009714: D100003B 00F277B2
	v_cndmask_b32_e64 v71, v178, v71, s[60:61]                 // 00000000971C: D1000047 00F28FB2
	s_branch label_1693                                        // 000000009724: BF820025

0000000000009728 <label_166E>:
	v_mov_b32_e32 v56, v178                                    // 000000009728: 7E7003B2
	v_mov_b32_e32 v68, v178                                    // 00000000972C: 7E8803B2
	v_mov_b32_e32 v57, v178                                    // 000000009730: 7E7203B2
	v_mov_b32_e32 v69, v178                                    // 000000009734: 7E8A03B2
	v_mov_b32_e32 v58, v178                                    // 000000009738: 7E7403B2
	v_mov_b32_e32 v70, v178                                    // 00000000973C: 7E8C03B2
	v_mov_b32_e32 v59, v178                                    // 000000009740: 7E7603B2
	v_mov_b32_e32 v71, v178                                    // 000000009744: 7E8E03B2
	s_branch label_1693                                        // 000000009748: BF82001C

000000000000974c <label_1677>:
	s_mov_b32 s60, 0x80                                        // 00000000974C: BEBC00FF 00000080
	v_and_b32_e32 v32, 15, v0                                  // 000000009754: 2640008F
	v_add_u32_e64 v32, v32, s60                                // 000000009758: D1340020 00007920
	v_mul_i32_i24_e64 v33, s46, 16                             // 000000009760: D1060021 0001202E
	v_add_u32_e32 v32, v32, v33                                // 000000009768: 68404320
	v_cmp_lt_u32_e64 s[60:61], v32, s84                        // 00000000976C: D0C9003C 0000A920
	s_nop 1                                                    // 000000009774: BF800001
	v_cndmask_b32_e64 v60, v178, v60, s[60:61]                 // 000000009778: D100003C 00F279B2
	v_cndmask_b32_e64 v72, v178, v72, s[60:61]                 // 000000009780: D1000048 00F291B2
	v_cndmask_b32_e64 v61, v178, v61, s[60:61]                 // 000000009788: D100003D 00F27BB2
	v_cndmask_b32_e64 v73, v178, v73, s[60:61]                 // 000000009790: D1000049 00F293B2
	v_cndmask_b32_e64 v62, v178, v62, s[60:61]                 // 000000009798: D100003E 00F27DB2
	v_cndmask_b32_e64 v74, v178, v74, s[60:61]                 // 0000000097A0: D100004A 00F295B2
	v_cndmask_b32_e64 v63, v178, v63, s[60:61]                 // 0000000097A8: D100003F 00F27FB2
	v_cndmask_b32_e64 v75, v178, v75, s[60:61]                 // 0000000097B0: D100004B 00F297B2
	s_branch label_169C                                        // 0000000097B8: BF820009

00000000000097bc <label_1693>:
	v_mov_b32_e32 v60, v178                                    // 0000000097BC: 7E7803B2
	v_mov_b32_e32 v72, v178                                    // 0000000097C0: 7E9003B2
	v_mov_b32_e32 v61, v178                                    // 0000000097C4: 7E7A03B2
	v_mov_b32_e32 v73, v178                                    // 0000000097C8: 7E9203B2
	v_mov_b32_e32 v62, v178                                    // 0000000097CC: 7E7C03B2
	v_mov_b32_e32 v74, v178                                    // 0000000097D0: 7E9403B2
	v_mov_b32_e32 v63, v178                                    // 0000000097D4: 7E7E03B2
	v_mov_b32_e32 v75, v178                                    // 0000000097D8: 7E9603B2
	s_branch label_169C                                        // 0000000097DC: BF820000

00000000000097e0 <label_169C>:
	s_addk_i32 s74, 0x1                                        // 0000000097E0: B74A0001
	s_waitcnt lgkmcnt(8)                                       // 0000000097E4: BF8CC87F
	s_barrier                                                  // 0000000097E8: BF8A0000
	v_mfma_f32_16x16x16_bf16 v[76:79], v[108:109], a[72:73], 0 // 0000000097EC: D3E1004C 1202916C
	v_fma_f32 v52, v52, s57, -v140                             // 0000000097F4: D1CB0034 86307334
	v_fma_f32 v53, v53, s57, -v141                             // 0000000097FC: D1CB0035 86347335
	v_fma_f32 v54, v54, s57, -v142                             // 000000009804: D1CB0036 86387336
	v_fma_f32 v55, v55, s57, -v143                             // 00000000980C: D1CB0037 863C7337
	v_fma_f32 v56, v56, s57, -v140                             // 000000009814: D1CB0038 86307338
	v_fma_f32 v57, v57, s57, -v141                             // 00000000981C: D1CB0039 86347339
	v_mfma_f32_16x16x16_bf16 v[76:79], v[110:111], a[74:75], v[76:79]// 000000009824: D3E1004C 1532956E
	ds_read_b128 a[96:99], v14 offset:4352                     // 00000000982C: DBFE1100 6000000E
	ds_read_b128 a[100:103], v14 offset:4864                   // 000000009834: DBFE1300 6400000E
	v_mfma_f32_16x16x16_bf16 v[76:79], v[112:113], a[76:77], v[76:79]// 00000000983C: D3E1004C 15329970
	v_fma_f32 v58, v58, s57, -v142                             // 000000009844: D1CB003A 8638733A
	v_fma_f32 v59, v59, s57, -v143                             // 00000000984C: D1CB003B 863C733B
	v_fma_f32 v60, v60, s57, -v140                             // 000000009854: D1CB003C 8630733C
	v_fma_f32 v61, v61, s57, -v141                             // 00000000985C: D1CB003D 8634733D
	v_fma_f32 v62, v62, s57, -v142                             // 000000009864: D1CB003E 8638733E
	v_fma_f32 v63, v63, s57, -v143                             // 00000000986C: D1CB003F 863C733F
	v_mfma_f32_16x16x16_bf16 v[76:79], v[114:115], a[78:79], v[76:79]// 000000009874: D3E1004C 15329D72
	v_fma_f32 v64, v64, s57, -v144                             // 00000000987C: D1CB0040 86407340
	v_fma_f32 v65, v65, s57, -v145                             // 000000009884: D1CB0041 86447341
	v_fma_f32 v66, v66, s57, -v146                             // 00000000988C: D1CB0042 86487342
	v_fma_f32 v67, v67, s57, -v147                             // 000000009894: D1CB0043 864C7343
	v_fma_f32 v68, v68, s57, -v144                             // 00000000989C: D1CB0044 86407344
	v_fma_f32 v69, v69, s57, -v145                             // 0000000098A4: D1CB0045 86447345
	v_mfma_f32_16x16x16_bf16 v[80:83], v[108:109], a[80:81], 0 // 0000000098AC: D3E10050 1202A16C
	v_fma_f32 v70, v70, s57, -v146                             // 0000000098B4: D1CB0046 86487346
	v_fma_f32 v71, v71, s57, -v147                             // 0000000098BC: D1CB0047 864C7347
	v_fma_f32 v72, v72, s57, -v144                             // 0000000098C4: D1CB0048 86407348
	v_fma_f32 v73, v73, s57, -v145                             // 0000000098CC: D1CB0049 86447349
	v_fma_f32 v74, v74, s57, -v146                             // 0000000098D4: D1CB004A 8648734A
	v_fma_f32 v75, v75, s57, -v147                             // 0000000098DC: D1CB004B 864C734B
	v_mfma_f32_16x16x16_bf16 v[80:83], v[110:111], a[82:83], v[80:83]// 0000000098E4: D3E10050 1542A56E
	ds_read_b128 a[104:107], v14 offset:6528                   // 0000000098EC: DBFE1980 6800000E
	ds_read_b128 a[108:111], v14 offset:7040                   // 0000000098F4: DBFE1B80 6C00000E
	v_mfma_f32_16x16x16_bf16 v[80:83], v[112:113], a[84:85], v[80:83]// 0000000098FC: D3E10050 1542A970
	v_exp_f32_e32 v52, v52                                     // 000000009904: 7E684134
	v_exp_f32_e32 v53, v53                                     // 000000009908: 7E6A4135
	v_mfma_f32_16x16x16_bf16 v[80:83], v[114:115], a[86:87], v[80:83]// 00000000990C: D3E10050 1542AD72
	v_exp_f32_e32 v54, v54                                     // 000000009914: 7E6C4136
	v_exp_f32_e32 v55, v55                                     // 000000009918: 7E6E4137
	v_mfma_f32_16x16x16_bf16 v[84:87], v[108:109], a[88:89], 0 // 00000000991C: D3E10054 1202B16C
	v_exp_f32_e32 v56, v56                                     // 000000009924: 7E704138
	v_exp_f32_e32 v57, v57                                     // 000000009928: 7E724139
	v_mfma_f32_16x16x16_bf16 v[84:87], v[110:111], a[90:91], v[84:87]// 00000000992C: D3E10054 1552B56E
	ds_read_b64 v[156:157], v21 offset:31232                   // 000000009934: D8EC7A00 9C000015
	ds_read_b64 v[158:159], v21 offset:33280                   // 00000000993C: D8EC8200 9E000015
	v_mfma_f32_16x16x16_bf16 v[84:87], v[112:113], a[92:93], v[84:87]// 000000009944: D3E10054 1552B970
	v_exp_f32_e32 v58, v58                                     // 00000000994C: 7E74413A
	v_exp_f32_e32 v59, v59                                     // 000000009950: 7E76413B
	v_mfma_f32_16x16x16_bf16 v[84:87], v[114:115], a[94:95], v[84:87]// 000000009954: D3E10054 1552BD72
	ds_read_b64 v[160:161], v21 offset:35328                   // 00000000995C: D8EC8A00 A0000015
	ds_read_b64 v[162:163], v21 offset:37376                   // 000000009964: D8EC9200 A2000015
	v_mfma_f32_16x16x16_bf16 v[88:91], v[116:117], a[72:73], 0 // 00000000996C: D3E10058 12029174
	v_exp_f32_e32 v60, v60                                     // 000000009974: 7E78413C
	v_exp_f32_e32 v61, v61                                     // 000000009978: 7E7A413D
	v_mfma_f32_16x16x16_bf16 v[88:91], v[118:119], a[74:75], v[88:91]// 00000000997C: D3E10058 15629576
	v_exp_f32_e32 v62, v62                                     // 000000009984: 7E7C413E
	v_exp_f32_e32 v63, v63                                     // 000000009988: 7E7E413F
	v_mfma_f32_16x16x16_bf16 v[88:91], v[120:121], a[76:77], v[88:91]// 00000000998C: D3E10058 15629978
	v_exp_f32_e32 v64, v64                                     // 000000009994: 7E804140
	v_exp_f32_e32 v65, v65                                     // 000000009998: 7E824141
	v_mfma_f32_16x16x16_bf16 v[88:91], v[122:123], a[78:79], v[88:91]// 00000000999C: D3E10058 15629D7A
	v_exp_f32_e32 v66, v66                                     // 0000000099A4: 7E844142
	v_exp_f32_e32 v67, v67                                     // 0000000099A8: 7E864143
	v_mfma_f32_16x16x16_bf16 v[92:95], v[116:117], a[80:81], 0 // 0000000099AC: D3E1005C 1202A174
	v_exp_f32_e32 v68, v68                                     // 0000000099B4: 7E884144
	v_exp_f32_e32 v69, v69                                     // 0000000099B8: 7E8A4145
	v_mfma_f32_16x16x16_bf16 v[92:95], v[118:119], a[82:83], v[92:95]// 0000000099BC: D3E1005C 1572A576
	v_exp_f32_e32 v70, v70                                     // 0000000099C4: 7E8C4146
	v_exp_f32_e32 v71, v71                                     // 0000000099C8: 7E8E4147
	v_mfma_f32_16x16x16_bf16 v[92:95], v[120:121], a[84:85], v[92:95]// 0000000099CC: D3E1005C 1572A978
	v_exp_f32_e32 v72, v72                                     // 0000000099D4: 7E904148
	v_exp_f32_e32 v73, v73                                     // 0000000099D8: 7E924149
	v_mfma_f32_16x16x16_bf16 v[92:95], v[122:123], a[86:87], v[92:95]// 0000000099DC: D3E1005C 1572AD7A
	v_exp_f32_e32 v74, v74                                     // 0000000099E4: 7E94414A
	v_exp_f32_e32 v75, v75                                     // 0000000099E8: 7E96414B
	v_mfma_f32_16x16x16_bf16 v[96:99], v[116:117], a[88:89], 0 // 0000000099EC: D3E10060 1202B174
	v_cmp_u_f32_e64 s[78:79], v52, v52                         // 0000000099F4: D048004E 00026934
	v_add3_u32 v228, v52, v231, 1                              // 0000000099FC: D1FF00E4 0207CF34
	v_cndmask_b32_e64 v32, v228, v230, s[78:79]                // 000000009A04: D1000020 013BCDE4
	v_cmp_u_f32_e64 s[78:79], v53, v53                         // 000000009A0C: D048004E 00026B35
	v_add3_u32 v228, v53, v231, 1                              // 000000009A14: D1FF00E4 0207CF35
	v_cndmask_b32_e64 v33, v228, v230, s[78:79]                // 000000009A1C: D1000021 013BCDE4
	v_perm_b32 v164, v33, v32, s64                             // 000000009A24: D1ED00A4 01024121
	v_cmp_u_f32_e64 s[78:79], v54, v54                         // 000000009A2C: D048004E 00026D36
	v_add3_u32 v228, v54, v231, 1                              // 000000009A34: D1FF00E4 0207CF36
	v_cndmask_b32_e64 v32, v228, v230, s[78:79]                // 000000009A3C: D1000020 013BCDE4
	v_cmp_u_f32_e64 s[78:79], v55, v55                         // 000000009A44: D048004E 00026F37
	v_add3_u32 v228, v55, v231, 1                              // 000000009A4C: D1FF00E4 0207CF37
	v_cndmask_b32_e64 v33, v228, v230, s[78:79]                // 000000009A54: D1000021 013BCDE4
	v_perm_b32 v165, v33, v32, s64                             // 000000009A5C: D1ED00A5 01024121
	v_cmp_u_f32_e64 s[78:79], v56, v56                         // 000000009A64: D048004E 00027138
	v_add3_u32 v228, v56, v231, 1                              // 000000009A6C: D1FF00E4 0207CF38
	v_cndmask_b32_e64 v32, v228, v230, s[78:79]                // 000000009A74: D1000020 013BCDE4
	v_cmp_u_f32_e64 s[78:79], v57, v57                         // 000000009A7C: D048004E 00027339
	v_add3_u32 v228, v57, v231, 1                              // 000000009A84: D1FF00E4 0207CF39
	v_cndmask_b32_e64 v33, v228, v230, s[78:79]                // 000000009A8C: D1000021 013BCDE4
	v_perm_b32 v166, v33, v32, s64                             // 000000009A94: D1ED00A6 01024121
	v_cmp_u_f32_e64 s[78:79], v58, v58                         // 000000009A9C: D048004E 0002753A
	v_add3_u32 v228, v58, v231, 1                              // 000000009AA4: D1FF00E4 0207CF3A
	v_cndmask_b32_e64 v32, v228, v230, s[78:79]                // 000000009AAC: D1000020 013BCDE4
	v_cmp_u_f32_e64 s[78:79], v59, v59                         // 000000009AB4: D048004E 0002773B
	v_add3_u32 v228, v59, v231, 1                              // 000000009ABC: D1FF00E4 0207CF3B
	v_cndmask_b32_e64 v33, v228, v230, s[78:79]                // 000000009AC4: D1000021 013BCDE4
	v_perm_b32 v167, v33, v32, s64                             // 000000009ACC: D1ED00A7 01024121
	v_cmp_u_f32_e64 s[78:79], v60, v60                         // 000000009AD4: D048004E 0002793C
	v_add3_u32 v228, v60, v231, 1                              // 000000009ADC: D1FF00E4 0207CF3C
	v_cndmask_b32_e64 v32, v228, v230, s[78:79]                // 000000009AE4: D1000020 013BCDE4
	v_cmp_u_f32_e64 s[78:79], v61, v61                         // 000000009AEC: D048004E 00027B3D
	v_add3_u32 v228, v61, v231, 1                              // 000000009AF4: D1FF00E4 0207CF3D
	v_cndmask_b32_e64 v33, v228, v230, s[78:79]                // 000000009AFC: D1000021 013BCDE4
	v_perm_b32 v168, v33, v32, s64                             // 000000009B04: D1ED00A8 01024121
	v_cmp_u_f32_e64 s[78:79], v62, v62                         // 000000009B0C: D048004E 00027D3E
	v_add3_u32 v228, v62, v231, 1                              // 000000009B14: D1FF00E4 0207CF3E
	v_cndmask_b32_e64 v32, v228, v230, s[78:79]                // 000000009B1C: D1000020 013BCDE4
	v_cmp_u_f32_e64 s[78:79], v63, v63                         // 000000009B24: D048004E 00027F3F
	v_add3_u32 v228, v63, v231, 1                              // 000000009B2C: D1FF00E4 0207CF3F
	v_cndmask_b32_e64 v33, v228, v230, s[78:79]                // 000000009B34: D1000021 013BCDE4
	v_perm_b32 v169, v33, v32, s64                             // 000000009B3C: D1ED00A9 01024121
	v_mfma_f32_16x16x16_bf16 v[96:99], v[118:119], a[90:91], v[96:99]// 000000009B44: D3E10060 1582B576
	v_cmp_u_f32_e64 s[78:79], v64, v64                         // 000000009B4C: D048004E 00028140
	v_add3_u32 v228, v64, v231, 1                              // 000000009B54: D1FF00E4 0207CF40
	v_cndmask_b32_e64 v32, v228, v230, s[78:79]                // 000000009B5C: D1000020 013BCDE4
	v_cmp_u_f32_e64 s[78:79], v65, v65                         // 000000009B64: D048004E 00028341
	v_add3_u32 v228, v65, v231, 1                              // 000000009B6C: D1FF00E4 0207CF41
	v_cndmask_b32_e64 v33, v228, v230, s[78:79]                // 000000009B74: D1000021 013BCDE4
	v_perm_b32 v170, v33, v32, s64                             // 000000009B7C: D1ED00AA 01024121
	v_cmp_u_f32_e64 s[78:79], v66, v66                         // 000000009B84: D048004E 00028542
	v_add3_u32 v228, v66, v231, 1                              // 000000009B8C: D1FF00E4 0207CF42
	v_cndmask_b32_e64 v32, v228, v230, s[78:79]                // 000000009B94: D1000020 013BCDE4
	v_cmp_u_f32_e64 s[78:79], v67, v67                         // 000000009B9C: D048004E 00028743
	v_add3_u32 v228, v67, v231, 1                              // 000000009BA4: D1FF00E4 0207CF43
	v_cndmask_b32_e64 v33, v228, v230, s[78:79]                // 000000009BAC: D1000021 013BCDE4
	v_perm_b32 v171, v33, v32, s64                             // 000000009BB4: D1ED00AB 01024121
	v_cmp_u_f32_e64 s[78:79], v68, v68                         // 000000009BBC: D048004E 00028944
	v_add3_u32 v228, v68, v231, 1                              // 000000009BC4: D1FF00E4 0207CF44
	v_cndmask_b32_e64 v32, v228, v230, s[78:79]                // 000000009BCC: D1000020 013BCDE4
	v_cmp_u_f32_e64 s[78:79], v69, v69                         // 000000009BD4: D048004E 00028B45
	v_add3_u32 v228, v69, v231, 1                              // 000000009BDC: D1FF00E4 0207CF45
	v_cndmask_b32_e64 v33, v228, v230, s[78:79]                // 000000009BE4: D1000021 013BCDE4
	v_perm_b32 v172, v33, v32, s64                             // 000000009BEC: D1ED00AC 01024121
	v_cmp_u_f32_e64 s[78:79], v70, v70                         // 000000009BF4: D048004E 00028D46
	v_add3_u32 v228, v70, v231, 1                              // 000000009BFC: D1FF00E4 0207CF46
	v_cndmask_b32_e64 v32, v228, v230, s[78:79]                // 000000009C04: D1000020 013BCDE4
	v_cmp_u_f32_e64 s[78:79], v71, v71                         // 000000009C0C: D048004E 00028F47
	v_add3_u32 v228, v71, v231, 1                              // 000000009C14: D1FF00E4 0207CF47
	v_cndmask_b32_e64 v33, v228, v230, s[78:79]                // 000000009C1C: D1000021 013BCDE4
	v_perm_b32 v173, v33, v32, s64                             // 000000009C24: D1ED00AD 01024121
	v_cmp_u_f32_e64 s[78:79], v72, v72                         // 000000009C2C: D048004E 00029148
	v_add3_u32 v228, v72, v231, 1                              // 000000009C34: D1FF00E4 0207CF48
	v_cndmask_b32_e64 v32, v228, v230, s[78:79]                // 000000009C3C: D1000020 013BCDE4
	v_cmp_u_f32_e64 s[78:79], v73, v73                         // 000000009C44: D048004E 00029349
	v_add3_u32 v228, v73, v231, 1                              // 000000009C4C: D1FF00E4 0207CF49
	v_cndmask_b32_e64 v33, v228, v230, s[78:79]                // 000000009C54: D1000021 013BCDE4
	v_perm_b32 v174, v33, v32, s64                             // 000000009C5C: D1ED00AE 01024121
	v_cmp_u_f32_e64 s[78:79], v74, v74                         // 000000009C64: D048004E 0002954A
	v_add3_u32 v228, v74, v231, 1                              // 000000009C6C: D1FF00E4 0207CF4A
	v_cndmask_b32_e64 v32, v228, v230, s[78:79]                // 000000009C74: D1000020 013BCDE4
	v_cmp_u_f32_e64 s[78:79], v75, v75                         // 000000009C7C: D048004E 0002974B
	v_add3_u32 v228, v75, v231, 1                              // 000000009C84: D1FF00E4 0207CF4B
	v_cndmask_b32_e64 v33, v228, v230, s[78:79]                // 000000009C8C: D1000021 013BCDE4
	v_perm_b32 v175, v33, v32, s64                             // 000000009C94: D1ED00AF 01024121
	v_mfma_f32_16x16x16_bf16 v[96:99], v[120:121], a[92:93], v[96:99]// 000000009C9C: D3E10060 1582B978
	v_add_u32_e32 v6, s66, v6                                  // 000000009CA4: 680C0C42
	v_add_u32_e32 v7, s66, v7                                  // 000000009CA8: 680E0E42
	v_add_u32_e32 v8, s66, v8                                  // 000000009CAC: 68101042
	v_add_u32_e32 v9, s66, v9                                  // 000000009CB0: 68121242
	v_mfma_f32_16x16x16_bf16 v[96:99], v[122:123], a[94:95], v[96:99]// 000000009CB4: D3E10060 1582BD7A
	s_waitcnt lgkmcnt(0)                                       // 000000009CBC: BF8CC07F
	s_barrier                                                  // 000000009CC0: BF8A0000
	v_mfma_f32_16x16x16_bf16 v[180:183], v[124:125], v[164:165], v[180:183]// 000000009CC4: D3E100B4 06D3497C
	v_subrev_f32_dpp v76, v176, v76 quad_perm:[0,0,0,0] row_mask:0xf bank_mask:0xf// 000000009CCC: 069898FA FF0000B0
	v_subrev_f32_dpp v77, v176, v77 quad_perm:[1,1,1,1] row_mask:0xf bank_mask:0xf// 000000009CD4: 069A9AFA FF0055B0
	v_subrev_f32_dpp v78, v176, v78 quad_perm:[2,2,2,2] row_mask:0xf bank_mask:0xf// 000000009CDC: 069C9CFA FF00AAB0
	v_subrev_f32_dpp v79, v176, v79 quad_perm:[3,3,3,3] row_mask:0xf bank_mask:0xf// 000000009CE4: 069E9EFA FF00FFB0
	v_subrev_f32_dpp v80, v176, v80 quad_perm:[0,0,0,0] row_mask:0xf bank_mask:0xf// 000000009CEC: 06A0A0FA FF0000B0
	v_subrev_f32_dpp v81, v176, v81 quad_perm:[1,1,1,1] row_mask:0xf bank_mask:0xf// 000000009CF4: 06A2A2FA FF0055B0
	v_mfma_f32_16x16x16_bf16 v[184:187], v[126:127], v[164:165], v[184:187]// 000000009CFC: D3E100B8 06E3497E
	v_subrev_f32_dpp v82, v176, v82 quad_perm:[2,2,2,2] row_mask:0xf bank_mask:0xf// 000000009D04: 06A4A4FA FF00AAB0
	v_subrev_f32_dpp v83, v176, v83 quad_perm:[3,3,3,3] row_mask:0xf bank_mask:0xf// 000000009D0C: 06A6A6FA FF00FFB0
	v_subrev_f32_dpp v84, v176, v84 quad_perm:[0,0,0,0] row_mask:0xf bank_mask:0xf// 000000009D14: 06A8A8FA FF0000B0
	v_subrev_f32_dpp v85, v176, v85 quad_perm:[1,1,1,1] row_mask:0xf bank_mask:0xf// 000000009D1C: 06AAAAFA FF0055B0
	v_subrev_f32_dpp v86, v176, v86 quad_perm:[2,2,2,2] row_mask:0xf bank_mask:0xf// 000000009D24: 06ACACFA FF00AAB0
	v_subrev_f32_dpp v87, v176, v87 quad_perm:[3,3,3,3] row_mask:0xf bank_mask:0xf// 000000009D2C: 06AEAEFA FF00FFB0
	v_mfma_f32_16x16x16_bf16 v[188:191], v[128:129], v[164:165], v[188:191]// 000000009D34: D3E100BC 06F34980
	v_mul_f32_e32 v76, v52, v76                                // 000000009D3C: 0A989934
	v_mul_f32_e32 v77, v53, v77                                // 000000009D40: 0A9A9B35
	v_mul_f32_e32 v78, v54, v78                                // 000000009D44: 0A9C9D36
	v_mul_f32_e32 v79, v55, v79                                // 000000009D48: 0A9E9F37
	v_mul_f32_e32 v80, v56, v80                                // 000000009D4C: 0AA0A138
	v_mul_f32_e32 v81, v57, v81                                // 000000009D50: 0AA2A339
	v_mfma_f32_16x16x16_bf16 v[192:195], v[130:131], v[164:165], v[192:195]// 000000009D54: D3E100C0 07034982
	v_mul_f32_e32 v82, v58, v82                                // 000000009D5C: 0AA4A53A
	v_mul_f32_e32 v83, v59, v83                                // 000000009D60: 0AA6A73B
	v_mul_f32_e32 v84, v60, v84                                // 000000009D64: 0AA8A93C
	v_mul_f32_e32 v85, v61, v85                                // 000000009D68: 0AAAAB3D
	v_mul_f32_e32 v86, v62, v86                                // 000000009D6C: 0AACAD3E
	v_mul_f32_e32 v87, v63, v87                                // 000000009D70: 0AAEAF3F
	v_mfma_f32_16x16x16_bf16 v[196:199], v[124:125], v[166:167], v[196:199]// 000000009D74: D3E100C4 07134D7C
	v_cmp_u_f32_e64 s[78:79], v76, v76                         // 000000009D7C: D048004E 0002994C
	v_add3_u32 v228, v76, v231, 1                              // 000000009D84: D1FF00E4 0207CF4C
	v_cndmask_b32_e64 v32, v228, v230, s[78:79]                // 000000009D8C: D1000020 013BCDE4
	v_cmp_u_f32_e64 s[78:79], v77, v77                         // 000000009D94: D048004E 00029B4D
	v_add3_u32 v228, v77, v231, 1                              // 000000009D9C: D1FF00E4 0207CF4D
	v_cndmask_b32_e64 v33, v228, v230, s[78:79]                // 000000009DA4: D1000021 013BCDE4
	v_perm_b32 v76, v33, v32, s64                              // 000000009DAC: D1ED004C 01024121
	v_cmp_u_f32_e64 s[78:79], v78, v78                         // 000000009DB4: D048004E 00029D4E
	v_add3_u32 v228, v78, v231, 1                              // 000000009DBC: D1FF00E4 0207CF4E
	v_cndmask_b32_e64 v32, v228, v230, s[78:79]                // 000000009DC4: D1000020 013BCDE4
	v_cmp_u_f32_e64 s[78:79], v79, v79                         // 000000009DCC: D048004E 00029F4F
	v_add3_u32 v228, v79, v231, 1                              // 000000009DD4: D1FF00E4 0207CF4F
	v_cndmask_b32_e64 v33, v228, v230, s[78:79]                // 000000009DDC: D1000021 013BCDE4
	v_perm_b32 v77, v33, v32, s64                              // 000000009DE4: D1ED004D 01024121
	v_cmp_u_f32_e64 s[78:79], v80, v80                         // 000000009DEC: D048004E 0002A150
	v_add3_u32 v228, v80, v231, 1                              // 000000009DF4: D1FF00E4 0207CF50
	v_cndmask_b32_e64 v32, v228, v230, s[78:79]                // 000000009DFC: D1000020 013BCDE4
	v_cmp_u_f32_e64 s[78:79], v81, v81                         // 000000009E04: D048004E 0002A351
	v_add3_u32 v228, v81, v231, 1                              // 000000009E0C: D1FF00E4 0207CF51
	v_cndmask_b32_e64 v33, v228, v230, s[78:79]                // 000000009E14: D1000021 013BCDE4
	v_perm_b32 v78, v33, v32, s64                              // 000000009E1C: D1ED004E 01024121
	v_cmp_u_f32_e64 s[78:79], v82, v82                         // 000000009E24: D048004E 0002A552
	v_add3_u32 v228, v82, v231, 1                              // 000000009E2C: D1FF00E4 0207CF52
	v_cndmask_b32_e64 v32, v228, v230, s[78:79]                // 000000009E34: D1000020 013BCDE4
	v_cmp_u_f32_e64 s[78:79], v83, v83                         // 000000009E3C: D048004E 0002A753
	v_add3_u32 v228, v83, v231, 1                              // 000000009E44: D1FF00E4 0207CF53
	v_cndmask_b32_e64 v33, v228, v230, s[78:79]                // 000000009E4C: D1000021 013BCDE4
	v_perm_b32 v79, v33, v32, s64                              // 000000009E54: D1ED004F 01024121
	v_cmp_u_f32_e64 s[78:79], v84, v84                         // 000000009E5C: D048004E 0002A954
	v_add3_u32 v228, v84, v231, 1                              // 000000009E64: D1FF00E4 0207CF54
	v_cndmask_b32_e64 v32, v228, v230, s[78:79]                // 000000009E6C: D1000020 013BCDE4
	v_cmp_u_f32_e64 s[78:79], v85, v85                         // 000000009E74: D048004E 0002AB55
	v_add3_u32 v228, v85, v231, 1                              // 000000009E7C: D1FF00E4 0207CF55
	v_cndmask_b32_e64 v33, v228, v230, s[78:79]                // 000000009E84: D1000021 013BCDE4
	v_perm_b32 v80, v33, v32, s64                              // 000000009E8C: D1ED0050 01024121
	v_cmp_u_f32_e64 s[78:79], v86, v86                         // 000000009E94: D048004E 0002AD56
	v_add3_u32 v228, v86, v231, 1                              // 000000009E9C: D1FF00E4 0207CF56
	v_cndmask_b32_e64 v32, v228, v230, s[78:79]                // 000000009EA4: D1000020 013BCDE4
	v_cmp_u_f32_e64 s[78:79], v87, v87                         // 000000009EAC: D048004E 0002AF57
	v_add3_u32 v228, v87, v231, 1                              // 000000009EB4: D1FF00E4 0207CF57
	v_cndmask_b32_e64 v33, v228, v230, s[78:79]                // 000000009EBC: D1000021 013BCDE4
	v_perm_b32 v81, v33, v32, s64                              // 000000009EC4: D1ED0051 01024121
	v_mfma_f32_16x16x16_bf16 v[200:203], v[126:127], v[166:167], v[200:203]// 000000009ECC: D3E100C8 07234D7E
	v_mov_b32_dpp v18, v76 quad_perm:[1,0,3,2] row_mask:0xf bank_mask:0xf// 000000009ED4: 7E2402FA FF00B14C
	v_perm_b32 v52, v18, v76, v17                              // 000000009EDC: D1ED0034 04469912
	v_mov_b32_dpp v18, v77 quad_perm:[1,0,3,2] row_mask:0xf bank_mask:0xf// 000000009EE4: 7E2402FA FF00B14D
	v_perm_b32 v53, v18, v77, v17                              // 000000009EEC: D1ED0035 04469B12
	v_mov_b32_dpp v18, v78 quad_perm:[1,0,3,2] row_mask:0xf bank_mask:0xf// 000000009EF4: 7E2402FA FF00B14E
	v_perm_b32 v54, v18, v78, v17                              // 000000009EFC: D1ED0036 04469D12
	v_mfma_f32_16x16x16_bf16 v[204:207], v[128:129], v[166:167], v[204:207]// 000000009F04: D3E100CC 07334D80
	ds_write_b32 v20, v52 offset:17408                         // 000000009F0C: D81A4400 00003414
	ds_write_b32 v20, v53 offset:17952                         // 000000009F14: D81A4620 00003514
	v_mfma_f32_16x16x16_bf16 v[208:211], v[130:131], v[166:167], v[208:211]// 000000009F1C: D3E100D0 07434D82
	v_mov_b32_dpp v18, v79 quad_perm:[1,0,3,2] row_mask:0xf bank_mask:0xf// 000000009F24: 7E2402FA FF00B14F
	v_perm_b32 v55, v18, v79, v17                              // 000000009F2C: D1ED0037 04469F12
	v_mov_b32_dpp v18, v80 quad_perm:[1,0,3,2] row_mask:0xf bank_mask:0xf// 000000009F34: 7E2402FA FF00B150
	v_perm_b32 v56, v18, v80, v17                              // 000000009F3C: D1ED0038 0446A112
	v_mov_b32_dpp v18, v81 quad_perm:[1,0,3,2] row_mask:0xf bank_mask:0xf// 000000009F44: 7E2402FA FF00B151
	v_perm_b32 v57, v18, v81, v17                              // 000000009F4C: D1ED0039 0446A312
	v_mfma_f32_16x16x16_bf16 v[212:215], v[124:125], v[168:169], v[212:215]// 000000009F54: D3E100D4 0753517C
	ds_write_b32 v20, v54 offset:19712                         // 000000009F5C: D81A4D00 00003614
	ds_write_b32 v20, v55 offset:20256                         // 000000009F64: D81A4F20 00003714
	v_mfma_f32_16x16x16_bf16 v[216:219], v[126:127], v[168:169], v[216:219]// 000000009F6C: D3E100D8 0763517E
	v_subrev_f32_dpp v88, v177, v88 quad_perm:[0,0,0,0] row_mask:0xf bank_mask:0xf// 000000009F74: 06B0B0FA FF0000B1
	v_subrev_f32_dpp v89, v177, v89 quad_perm:[1,1,1,1] row_mask:0xf bank_mask:0xf// 000000009F7C: 06B2B2FA FF0055B1
	v_subrev_f32_dpp v90, v177, v90 quad_perm:[2,2,2,2] row_mask:0xf bank_mask:0xf// 000000009F84: 06B4B4FA FF00AAB1
	v_subrev_f32_dpp v91, v177, v91 quad_perm:[3,3,3,3] row_mask:0xf bank_mask:0xf// 000000009F8C: 06B6B6FA FF00FFB1
	v_subrev_f32_dpp v92, v177, v92 quad_perm:[0,0,0,0] row_mask:0xf bank_mask:0xf// 000000009F94: 06B8B8FA FF0000B1
	v_subrev_f32_dpp v93, v177, v93 quad_perm:[1,1,1,1] row_mask:0xf bank_mask:0xf// 000000009F9C: 06BABAFA FF0055B1
	v_mfma_f32_16x16x16_bf16 v[220:223], v[128:129], v[168:169], v[220:223]// 000000009FA4: D3E100DC 07735180
	ds_write_b32 v20, v56 offset:22016                         // 000000009FAC: D81A5600 00003814
	ds_write_b32 v20, v57 offset:22560                         // 000000009FB4: D81A5820 00003914
	v_mfma_f32_16x16x16_bf16 v[224:227], v[130:131], v[168:169], v[224:227]// 000000009FBC: D3E100E0 07835182
	v_subrev_f32_dpp v94, v177, v94 quad_perm:[2,2,2,2] row_mask:0xf bank_mask:0xf// 000000009FC4: 06BCBCFA FF00AAB1
	v_subrev_f32_dpp v95, v177, v95 quad_perm:[3,3,3,3] row_mask:0xf bank_mask:0xf// 000000009FCC: 06BEBEFA FF00FFB1
	v_subrev_f32_dpp v96, v177, v96 quad_perm:[0,0,0,0] row_mask:0xf bank_mask:0xf// 000000009FD4: 06C0C0FA FF0000B1
	v_subrev_f32_dpp v97, v177, v97 quad_perm:[1,1,1,1] row_mask:0xf bank_mask:0xf// 000000009FDC: 06C2C2FA FF0055B1
	v_subrev_f32_dpp v98, v177, v98 quad_perm:[2,2,2,2] row_mask:0xf bank_mask:0xf// 000000009FE4: 06C4C4FA FF00AAB1
	v_subrev_f32_dpp v99, v177, v99 quad_perm:[3,3,3,3] row_mask:0xf bank_mask:0xf// 000000009FEC: 06C6C6FA FF00FFB1
	v_mfma_f32_16x16x16_bf16 v[180:183], v[132:133], v[170:171], v[180:183]// 000000009FF4: D3E100B4 06D35584
	v_mul_f32_e32 v88, v64, v88                                // 000000009FFC: 0AB0B140
	v_mul_f32_e32 v89, v65, v89                                // 00000000A000: 0AB2B341
	v_mul_f32_e32 v90, v66, v90                                // 00000000A004: 0AB4B542
	v_mul_f32_e32 v91, v67, v91                                // 00000000A008: 0AB6B743
	v_mul_f32_e32 v92, v68, v92                                // 00000000A00C: 0AB8B944
	v_mul_f32_e32 v93, v69, v93                                // 00000000A010: 0ABABB45
	v_mfma_f32_16x16x16_bf16 v[184:187], v[134:135], v[170:171], v[184:187]// 00000000A014: D3E100B8 06E35586
	v_mul_f32_e32 v94, v70, v94                                // 00000000A01C: 0ABCBD46
	v_mul_f32_e32 v95, v71, v95                                // 00000000A020: 0ABEBF47
	v_mul_f32_e32 v96, v72, v96                                // 00000000A024: 0AC0C148
	v_mul_f32_e32 v97, v73, v97                                // 00000000A028: 0AC2C349
	v_mul_f32_e32 v98, v74, v98                                // 00000000A02C: 0AC4C54A
	v_mul_f32_e32 v99, v75, v99                                // 00000000A030: 0AC6C74B
	v_mfma_f32_16x16x16_bf16 v[188:191], v[136:137], v[170:171], v[188:191]// 00000000A034: D3E100BC 06F35588
	v_cmp_u_f32_e64 s[78:79], v88, v88                         // 00000000A03C: D048004E 0002B158
	v_add3_u32 v228, v88, v231, 1                              // 00000000A044: D1FF00E4 0207CF58
	v_cndmask_b32_e64 v32, v228, v230, s[78:79]                // 00000000A04C: D1000020 013BCDE4
	v_cmp_u_f32_e64 s[78:79], v89, v89                         // 00000000A054: D048004E 0002B359
	v_add3_u32 v228, v89, v231, 1                              // 00000000A05C: D1FF00E4 0207CF59
	v_cndmask_b32_e64 v33, v228, v230, s[78:79]                // 00000000A064: D1000021 013BCDE4
	v_perm_b32 v82, v33, v32, s64                              // 00000000A06C: D1ED0052 01024121
	v_cmp_u_f32_e64 s[78:79], v90, v90                         // 00000000A074: D048004E 0002B55A
	v_add3_u32 v228, v90, v231, 1                              // 00000000A07C: D1FF00E4 0207CF5A
	v_cndmask_b32_e64 v32, v228, v230, s[78:79]                // 00000000A084: D1000020 013BCDE4
	v_cmp_u_f32_e64 s[78:79], v91, v91                         // 00000000A08C: D048004E 0002B75B
	v_add3_u32 v228, v91, v231, 1                              // 00000000A094: D1FF00E4 0207CF5B
	v_cndmask_b32_e64 v33, v228, v230, s[78:79]                // 00000000A09C: D1000021 013BCDE4
	v_perm_b32 v83, v33, v32, s64                              // 00000000A0A4: D1ED0053 01024121
	v_cmp_u_f32_e64 s[78:79], v92, v92                         // 00000000A0AC: D048004E 0002B95C
	v_add3_u32 v228, v92, v231, 1                              // 00000000A0B4: D1FF00E4 0207CF5C
	v_cndmask_b32_e64 v32, v228, v230, s[78:79]                // 00000000A0BC: D1000020 013BCDE4
	v_cmp_u_f32_e64 s[78:79], v93, v93                         // 00000000A0C4: D048004E 0002BB5D
	v_add3_u32 v228, v93, v231, 1                              // 00000000A0CC: D1FF00E4 0207CF5D
	v_cndmask_b32_e64 v33, v228, v230, s[78:79]                // 00000000A0D4: D1000021 013BCDE4
	v_perm_b32 v84, v33, v32, s64                              // 00000000A0DC: D1ED0054 01024121
	v_cmp_u_f32_e64 s[78:79], v94, v94                         // 00000000A0E4: D048004E 0002BD5E
	v_add3_u32 v228, v94, v231, 1                              // 00000000A0EC: D1FF00E4 0207CF5E
	v_cndmask_b32_e64 v32, v228, v230, s[78:79]                // 00000000A0F4: D1000020 013BCDE4
	v_cmp_u_f32_e64 s[78:79], v95, v95                         // 00000000A0FC: D048004E 0002BF5F
	v_add3_u32 v228, v95, v231, 1                              // 00000000A104: D1FF00E4 0207CF5F
	v_cndmask_b32_e64 v33, v228, v230, s[78:79]                // 00000000A10C: D1000021 013BCDE4
	v_perm_b32 v85, v33, v32, s64                              // 00000000A114: D1ED0055 01024121
	v_cmp_u_f32_e64 s[78:79], v96, v96                         // 00000000A11C: D048004E 0002C160
	v_add3_u32 v228, v96, v231, 1                              // 00000000A124: D1FF00E4 0207CF60
	v_cndmask_b32_e64 v32, v228, v230, s[78:79]                // 00000000A12C: D1000020 013BCDE4
	v_cmp_u_f32_e64 s[78:79], v97, v97                         // 00000000A134: D048004E 0002C361
	v_add3_u32 v228, v97, v231, 1                              // 00000000A13C: D1FF00E4 0207CF61
	v_cndmask_b32_e64 v33, v228, v230, s[78:79]                // 00000000A144: D1000021 013BCDE4
	v_perm_b32 v86, v33, v32, s64                              // 00000000A14C: D1ED0056 01024121
	v_cmp_u_f32_e64 s[78:79], v98, v98                         // 00000000A154: D048004E 0002C562
	v_add3_u32 v228, v98, v231, 1                              // 00000000A15C: D1FF00E4 0207CF62
	v_cndmask_b32_e64 v32, v228, v230, s[78:79]                // 00000000A164: D1000020 013BCDE4
	v_cmp_u_f32_e64 s[78:79], v99, v99                         // 00000000A16C: D048004E 0002C763
	v_add3_u32 v228, v99, v231, 1                              // 00000000A174: D1FF00E4 0207CF63
	v_cndmask_b32_e64 v33, v228, v230, s[78:79]                // 00000000A17C: D1000021 013BCDE4
	v_perm_b32 v87, v33, v32, s64                              // 00000000A184: D1ED0057 01024121
	v_mfma_f32_16x16x16_bf16 v[192:195], v[138:139], v[170:171], v[192:195]// 00000000A18C: D3E100C0 0703558A
	v_mov_b32_dpp v18, v82 quad_perm:[1,0,3,2] row_mask:0xf bank_mask:0xf// 00000000A194: 7E2402FA FF00B152
	v_perm_b32 v58, v18, v82, v17                              // 00000000A19C: D1ED003A 0446A512
	v_mov_b32_dpp v18, v83 quad_perm:[1,0,3,2] row_mask:0xf bank_mask:0xf// 00000000A1A4: 7E2402FA FF00B153
	v_perm_b32 v59, v18, v83, v17                              // 00000000A1AC: D1ED003B 0446A712
	v_mov_b32_dpp v18, v84 quad_perm:[1,0,3,2] row_mask:0xf bank_mask:0xf// 00000000A1B4: 7E2402FA FF00B154
	v_perm_b32 v60, v18, v84, v17                              // 00000000A1BC: D1ED003C 0446A912
	v_mfma_f32_16x16x16_bf16 v[196:199], v[132:133], v[172:173], v[196:199]// 00000000A1C4: D3E100C4 07135984
	ds_write_b32 v20, v58 offset:24320                         // 00000000A1CC: D81A5F00 00003A14
	ds_write_b32 v20, v59 offset:24864                         // 00000000A1D4: D81A6120 00003B14
	v_mfma_f32_16x16x16_bf16 v[200:203], v[134:135], v[172:173], v[200:203]// 00000000A1DC: D3E100C8 07235986
	v_mov_b32_dpp v18, v85 quad_perm:[1,0,3,2] row_mask:0xf bank_mask:0xf// 00000000A1E4: 7E2402FA FF00B155
	v_perm_b32 v61, v18, v85, v17                              // 00000000A1EC: D1ED003D 0446AB12
	v_mov_b32_dpp v18, v86 quad_perm:[1,0,3,2] row_mask:0xf bank_mask:0xf// 00000000A1F4: 7E2402FA FF00B156
	v_perm_b32 v62, v18, v86, v17                              // 00000000A1FC: D1ED003E 0446AD12
	v_mov_b32_dpp v18, v87 quad_perm:[1,0,3,2] row_mask:0xf bank_mask:0xf// 00000000A204: 7E2402FA FF00B157
	v_perm_b32 v63, v18, v87, v17                              // 00000000A20C: D1ED003F 0446AF12
	v_mfma_f32_16x16x16_bf16 v[204:207], v[136:137], v[172:173], v[204:207]// 00000000A214: D3E100CC 07335988
	ds_write_b32 v20, v60 offset:26624                         // 00000000A21C: D81A6800 00003C14
	ds_write_b32 v20, v61 offset:27168                         // 00000000A224: D81A6A20 00003D14
	ds_write_b32 v20, v62 offset:28928                         // 00000000A22C: D81A7100 00003E14
	ds_write_b32 v20, v63 offset:29472                         // 00000000A234: D81A7320 00003F14
	v_mfma_f32_16x16x16_bf16 v[208:211], v[138:139], v[172:173], v[208:211]// 00000000A23C: D3E100D0 0743598A
	v_mfma_f32_16x16x16_bf16 v[212:215], v[132:133], v[174:175], v[212:215]// 00000000A244: D3E100D4 07535D84
	ds_write_b32 v15, v100 offset:4352                         // 00000000A24C: D81A1100 0000640F
	ds_write_b32 v15, v101 offset:5408                         // 00000000A254: D81A1520 0000650F
	v_mfma_f32_16x16x16_bf16 v[216:219], v[134:135], v[174:175], v[216:219]// 00000000A25C: D3E100D8 07635D86
	v_mfma_f32_16x16x16_bf16 v[220:223], v[136:137], v[174:175], v[220:223]// 00000000A264: D3E100DC 07735D88
	ds_write_b32 v15, v102 offset:6528                         // 00000000A26C: D81A1980 0000660F
	ds_write_b32 v15, v103 offset:7584                         // 00000000A274: D81A1DA0 0000670F
	v_mfma_f32_16x16x16_bf16 v[224:227], v[138:139], v[174:175], v[224:227]// 00000000A27C: D3E100E0 07835D8A
	s_nop 0                                                    // 00000000A284: BF800000
	s_nop 0                                                    // 00000000A288: BF800000
	s_nop 0                                                    // 00000000A28C: BF800000
	s_barrier                                                  // 00000000A290: BF8A0000
	v_mfma_f32_16x16x16_bf16 a[112:115], a[96:97], v[76:77], a[112:115]// 00000000A294: D3E18070 0DC29960
	ds_read_b32 v140, v23 offset:39424                         // 00000000A29C: D86C9A00 8C000017
	ds_read_b32 v144, v23 offset:39488                         // 00000000A2A4: D86C9A40 90000017
	ds_read_b32 v176, v23 offset:39680                         // 00000000A2AC: D86C9B00 B0000017
	ds_read_b32 v177, v23 offset:39744                         // 00000000A2B4: D86C9B40 B1000017
	v_mfma_f32_16x16x16_bf16 a[116:119], a[98:99], v[76:77], a[116:119]// 00000000A2BC: D3E18074 0DD29962
	buffer_atomic_add_f32 v156, v6, s[32:35], 0 idxen          // 00000000A2C4: E1342000 80089C06
	v_mfma_f32_16x16x16_bf16 a[120:123], a[100:101], v[76:77], a[120:123]// 00000000A2CC: D3E18078 0DE29964
	s_waitcnt lgkmcnt(8)                                       // 00000000A2D4: BF8CC87F
	s_barrier                                                  // 00000000A2D8: BF8A0000
	v_mfma_f32_16x16x16_bf16 a[124:127], a[102:103], v[76:77], a[124:127]// 00000000A2DC: D3E1807C 0DF29966
	v_mfma_f32_16x16x16_bf16 a[128:131], a[96:97], v[78:79], a[128:131]// 00000000A2E4: D3E18080 0E029D60
	ds_read_b128 v[52:55], v19 offset:17408                    // 00000000A2EC: D9FE4400 34000013
	v_mfma_f32_16x16x16_bf16 a[132:135], a[98:99], v[78:79], a[132:135]// 00000000A2F4: D3E18084 0E129D62
	v_mfma_f32_16x16x16_bf16 a[136:139], a[100:101], v[78:79], a[136:139]// 00000000A2FC: D3E18088 0E229D64
	ds_read_b128 v[56:59], v19 offset:18560                    // 00000000A304: D9FE4880 38000013
	v_mfma_f32_16x16x16_bf16 a[140:143], a[102:103], v[78:79], a[140:143]// 00000000A30C: D3E1808C 0E329D66
	buffer_atomic_add_f32 v157, v7, s[32:35], 0 idxen          // 00000000A314: E1342000 80089D07
	v_mfma_f32_16x16x16_bf16 a[144:147], a[96:97], v[80:81], a[144:147]// 00000000A31C: D3E18090 0E42A160
	ds_read_b128 v[60:63], v19 offset:19712                    // 00000000A324: D9FE4D00 3C000013
	v_mfma_f32_16x16x16_bf16 a[148:151], a[98:99], v[80:81], a[148:151]// 00000000A32C: D3E18094 0E52A162
	v_mfma_f32_16x16x16_bf16 a[152:155], a[100:101], v[80:81], a[152:155]// 00000000A334: D3E18098 0E62A164
	ds_read_b128 v[64:67], v19 offset:20864                    // 00000000A33C: D9FE5180 40000013
	v_mfma_f32_16x16x16_bf16 a[156:159], a[102:103], v[80:81], a[156:159]// 00000000A344: D3E1809C 0E72A166
	v_mfma_f32_16x16x16_bf16 a[112:115], a[104:105], v[82:83], a[112:115]// 00000000A34C: D3E18070 0DC2A568
	ds_read_b128 v[68:71], v19 offset:22016                    // 00000000A354: D9FE5600 44000013
	v_mfma_f32_16x16x16_bf16 a[116:119], a[106:107], v[82:83], a[116:119]// 00000000A35C: D3E18074 0DD2A56A
	buffer_atomic_add_f32 v158, v6, s[32:35], 0 idxen offset:128// 00000000A364: E1342080 80089E06
	v_mfma_f32_16x16x16_bf16 a[120:123], a[108:109], v[82:83], a[120:123]// 00000000A36C: D3E18078 0DE2A56C
	ds_read_b128 v[72:75], v19 offset:23168                    // 00000000A374: D9FE5A80 48000013
	v_mfma_f32_16x16x16_bf16 a[124:127], a[110:111], v[82:83], a[124:127]// 00000000A37C: D3E1807C 0DF2A56E
	v_mfma_f32_16x16x16_bf16 a[128:131], a[104:105], v[84:85], a[128:131]// 00000000A384: D3E18080 0E02A968
	ds_write_b32 v15, v104 offset:13056                        // 00000000A38C: D81A3300 0000680F
	v_mfma_f32_16x16x16_bf16 a[132:135], a[106:107], v[84:85], a[132:135]// 00000000A394: D3E18084 0E12A96A
	v_mfma_f32_16x16x16_bf16 a[136:139], a[108:109], v[84:85], a[136:139]// 00000000A39C: D3E18088 0E22A96C
	ds_write_b32 v15, v105 offset:14112                        // 00000000A3A4: D81A3720 0000690F
	v_mfma_f32_16x16x16_bf16 a[140:143], a[110:111], v[84:85], a[140:143]// 00000000A3AC: D3E1808C 0E32A96E
	buffer_atomic_add_f32 v159, v7, s[32:35], 0 idxen offset:128// 00000000A3B4: E1342080 80089F07
	v_mfma_f32_16x16x16_bf16 a[144:147], a[104:105], v[86:87], a[144:147]// 00000000A3BC: D3E18090 0E42AD68
	ds_write_b32 v15, v106 offset:15232                        // 00000000A3C4: D81A3B80 00006A0F
	v_mfma_f32_16x16x16_bf16 a[148:151], a[106:107], v[86:87], a[148:151]// 00000000A3CC: D3E18094 0E52AD6A
	v_mfma_f32_16x16x16_bf16 a[152:155], a[108:109], v[86:87], a[152:155]// 00000000A3D4: D3E18098 0E62AD6C
	ds_write_b32 v15, v107 offset:16288                        // 00000000A3DC: D81A3FA0 00006B0F
	v_mfma_f32_16x16x16_bf16 a[156:159], a[110:111], v[86:87], a[156:159]// 00000000A3E4: D3E1809C 0E72AD6E
	s_waitcnt vmcnt(8) lgkmcnt(4)                              // 00000000A3EC: BF8C0478
	s_barrier                                                  // 00000000A3F0: BF8A0000
	v_mfma_f32_16x16x16_bf16 v[148:151], v[52:53], a[24:25], 0 // 00000000A3F4: D3E10094 12023134
	ds_read_b128 a[96:99], v12                                 // 00000000A3FC: DBFE0000 6000000C
	buffer_load_dword v36, v1, s[8:11], 0 idxen                // 00000000A404: E0502000 80022401
	v_mfma_f32_16x16x16_bf16 v[148:151], v[54:55], a[28:29], v[148:151]// 00000000A40C: D3E10094 16523936
	v_mul_f32_e32 v140, s48, v140                              // 00000000A414: 0B191830
	v_mul_f32_e32 v144, s48, v144                              // 00000000A418: 0B212030
	s_nop 0                                                    // 00000000A41C: BF800000
	v_mfma_f32_16x16x16_bf16 v[148:151], v[56:57], a[32:33], v[148:151]// 00000000A420: D3E10094 16524138
	ds_read_b128 a[100:103], v12 offset:512                    // 00000000A428: DBFE0200 6400000C
	buffer_load_dword v37, v2, s[8:11], 0 idxen                // 00000000A430: E0502000 80022502
	v_mfma_f32_16x16x16_bf16 v[148:151], v[58:59], a[36:37], v[148:151]// 00000000A438: D3E10094 1652493A
	v_mfma_f32_16x16x16_bf16 v[148:151], v[60:61], a[40:41], v[148:151]// 00000000A440: D3E10094 1652513C
	ds_read_b128 a[104:107], v12 offset:2176                   // 00000000A448: DBFE0880 6800000C
	buffer_load_dword v38, v3, s[8:11], 0 idxen                // 00000000A450: E0502000 80022603
	v_mfma_f32_16x16x16_bf16 v[148:151], v[62:63], a[44:45], v[148:151]// 00000000A458: D3E10094 1652593E
	v_perm_b32 v100, v41, v40, s63                             // 00000000A460: D1ED0064 00FE5129
	v_perm_b32 v101, v41, v40, s64                             // 00000000A468: D1ED0065 01025129
	v_mfma_f32_16x16x16_bf16 v[148:151], v[64:65], a[48:49], v[148:151]// 00000000A470: D3E10094 16526140
	ds_read_b128 a[108:111], v12 offset:2688                   // 00000000A478: DBFE0A80 6C00000C
	buffer_load_dword v39, v4, s[8:11], 0 idxen                // 00000000A480: E0502000 80022704
	v_mfma_f32_16x16x16_bf16 v[148:151], v[66:67], a[52:53], v[148:151]// 00000000A488: D3E10094 16526942
	v_perm_b32 v102, v43, v42, s63                             // 00000000A490: D1ED0066 00FE552B
	v_perm_b32 v103, v43, v42, s64                             // 00000000A498: D1ED0067 0102552B
	v_mfma_f32_16x16x16_bf16 v[148:151], v[68:69], a[56:57], v[148:151]// 00000000A4A0: D3E10094 16527144
	ds_read_b128 v[108:111], v12 offset:8704                   // 00000000A4A8: D9FE2200 6C00000C
	buffer_load_dword v44, v232, s[20:23], 0 idxen             // 00000000A4B0: E0502000 80052CE8
	v_mfma_f32_16x16x16_bf16 v[148:151], v[70:71], a[60:61], v[148:151]// 00000000A4B8: D3E10094 16527946
	v_perm_b32 v104, v49, v48, s63                             // 00000000A4C0: D1ED0068 00FE6131
	v_perm_b32 v105, v49, v48, s64                             // 00000000A4C8: D1ED0069 01026131
	v_mfma_f32_16x16x16_bf16 v[148:151], v[72:73], a[64:65], v[148:151]// 00000000A4D0: D3E10094 16528148
	ds_read_b128 v[112:115], v12 offset:9216                   // 00000000A4D8: D9FE2400 7000000C
	buffer_load_dword v45, v233, s[20:23], 0 idxen             // 00000000A4E0: E0502000 80052DE9
	v_mfma_f32_16x16x16_bf16 v[148:151], v[74:75], a[68:69], v[148:151]// 00000000A4E8: D3E10094 1652894A
	v_perm_b32 v106, v51, v50, s63                             // 00000000A4F0: D1ED006A 00FE6533
	v_perm_b32 v107, v51, v50, s64                             // 00000000A4F8: D1ED006B 01026533
	v_mfma_f32_16x16x16_bf16 v[152:155], v[52:53], a[26:27], 0 // 00000000A500: D3E10098 12023534
	ds_read_b128 v[116:119], v12 offset:10880                  // 00000000A508: D9FE2A80 7400000C
	buffer_load_dword v46, v234, s[20:23], 0 idxen             // 00000000A510: E0502000 80052EEA
	v_mfma_f32_16x16x16_bf16 v[152:155], v[54:55], a[30:31], v[152:155]// 00000000A518: D3E10098 16623D36
	v_mov_b32_dpp v143, v140 quad_perm:[3,3,3,3] row_mask:0xf bank_mask:0xf// 00000000A520: 7F1E02FA FF00FF8C
	v_mov_b32_dpp v142, v140 quad_perm:[2,2,2,2] row_mask:0xf bank_mask:0xf// 00000000A528: 7F1C02FA FF00AA8C
	v_mov_b32_dpp v141, v140 quad_perm:[1,1,1,1] row_mask:0xf bank_mask:0xf// 00000000A530: 7F1A02FA FF00558C
	v_mov_b32_dpp v140, v140 quad_perm:[0,0,0,0] row_mask:0xf bank_mask:0xf// 00000000A538: 7F1802FA FF00008C
	v_mfma_f32_16x16x16_bf16 v[152:155], v[56:57], a[34:35], v[152:155]// 00000000A540: D3E10098 16624538
	ds_read_b128 v[120:123], v12 offset:11392                  // 00000000A548: D9FE2C80 7800000C
	buffer_load_dword v47, v235, s[20:23], 0 idxen             // 00000000A550: E0502000 80052FEB
	v_mfma_f32_16x16x16_bf16 v[152:155], v[58:59], a[38:39], v[152:155]// 00000000A558: D3E10098 16624D3A
	v_mov_b32_dpp v147, v144 quad_perm:[3,3,3,3] row_mask:0xf bank_mask:0xf// 00000000A560: 7F2602FA FF00FF90
	v_mov_b32_dpp v146, v144 quad_perm:[2,2,2,2] row_mask:0xf bank_mask:0xf// 00000000A568: 7F2402FA FF00AA90
	v_mov_b32_dpp v145, v144 quad_perm:[1,1,1,1] row_mask:0xf bank_mask:0xf// 00000000A570: 7F2202FA FF005590
	v_mov_b32_dpp v144, v144 quad_perm:[0,0,0,0] row_mask:0xf bank_mask:0xf// 00000000A578: 7F2002FA FF000090
	s_add_u32 s60, 0x80, s59                                   // 00000000A580: 803C3BFF 00000080
	v_mfma_f32_16x16x16_bf16 v[152:155], v[60:61], a[42:43], v[152:155]// 00000000A588: D3E10098 1662553C
	buffer_load_dword v11, s[24:27], 0 idxen lds               // 00000000A590: E0512000 8006000B
	v_mfma_f32_16x16x16_bf16 v[152:155], v[62:63], a[46:47], v[152:155]// 00000000A598: D3E10098 16625D3E
	s_cmp_lt_u32 s60, s58                                      // 00000000A5A0: BF0A3A3C
	s_cselect_b32 s68, s68, 0                                  // 00000000A5A4: 85448044
	s_cselect_b32 s100, s100, 0                                // 00000000A5A8: 85648064
	s_cselect_b32 s69, s69, 0                                  // 00000000A5AC: 85458045
	v_mfma_f32_16x16x16_bf16 v[152:155], v[64:65], a[50:51], v[152:155]// 00000000A5B0: D3E10098 16626540
	v_add_u32_e32 v1, s68, v1                                  // 00000000A5B8: 68020244
	v_add_u32_e32 v2, s68, v2                                  // 00000000A5BC: 68040444
	v_add_u32_e32 v3, s68, v3                                  // 00000000A5C0: 68060644
	v_add_u32_e32 v4, s68, v4                                  // 00000000A5C4: 68080844
	v_mfma_f32_16x16x16_bf16 v[152:155], v[66:67], a[54:55], v[152:155]// 00000000A5C8: D3E10098 16626D42
	v_add_u32_e32 v232, s100, v232                             // 00000000A5D0: 69D1D064
	v_add_u32_e32 v233, s100, v233                             // 00000000A5D4: 69D3D264
	v_add_u32_e32 v234, s100, v234                             // 00000000A5D8: 69D5D464
	v_add_u32_e32 v235, s100, v235                             // 00000000A5DC: 69D7D664
	v_mfma_f32_16x16x16_bf16 v[152:155], v[68:69], a[58:59], v[152:155]// 00000000A5E0: D3E10098 16627544
	s_mov_b32 m0, s81                                          // 00000000A5E8: BEFC0051
	v_add_u32_e32 v11, s69, v11                                // 00000000A5EC: 68161645
	v_mfma_f32_16x16x16_bf16 v[152:155], v[70:71], a[62:63], v[152:155]// 00000000A5F0: D3E10098 16627D46
	s_cmp_ge_u32 s59, s73                                      // 00000000A5F8: BF09493B
	s_cselect_b32 s66, s67, s66                                // 00000000A5FC: 85424243
	v_mfma_f32_16x16x16_bf16 v[152:155], v[72:73], a[66:67], v[152:155]// 00000000A600: D3E10098 16628548
	s_addk_i32 s59, 0x20                                       // 00000000A608: B73B0020
	s_nop 0                                                    // 00000000A60C: BF800000
	s_cmp_lt_i32 s59, s58                                      // 00000000A610: BF043A3B
	v_mfma_f32_16x16x16_bf16 v[152:155], v[74:75], a[70:71], v[152:155]// 00000000A614: D3E10098 16628D4A
	s_cbranch_scc0 label_104F                                  // 00000000A61C: BF84F635
	s_branch label_1052                                        // 00000000A620: BF82F637

000000000000a624 <label_1A2D>:
	buffer_atomic_add_f32 v160, v8, s[32:35], 0 idxen          // 00000000A624: E1342000 8008A008
	buffer_atomic_add_f32 v161, v9, s[32:35], 0 idxen          // 00000000A62C: E1342000 8008A109
	buffer_atomic_add_f32 v162, v8, s[32:35], 0 idxen offset:128// 00000000A634: E1342080 8008A208
	buffer_atomic_add_f32 v163, v9, s[32:35], 0 idxen offset:128// 00000000A63C: E1342080 8008A309
	v_add_u32_e32 v6, s66, v6                                  // 00000000A644: 680C0C42
	v_add_u32_e32 v7, s66, v7                                  // 00000000A648: 680E0E42
	v_add_u32_e32 v8, s66, v8                                  // 00000000A64C: 68101042
	v_add_u32_e32 v9, s66, v9                                  // 00000000A650: 68121242
	v_lshrrev_b32_e32 v32, 5, v0                               // 00000000A654: 20400085
	v_mul_i32_i24_e32 v27, 0x44, v32                           // 00000000A658: 0C3640FF 00000044
	v_and_b32_e32 v32, 31, v0                                  // 00000000A660: 2640009F
	v_mul_i32_i24_e32 v33, 2, v32                              // 00000000A664: 0C424082
	v_add_u32_e32 v27, v33, v27                                // 00000000A668: 68363721
	s_mul_i32 s60, s46, 0x220                                  // 00000000A66C: 923CFF2E 00000220
	v_add_u32_e32 v27, s60, v27                                // 00000000A674: 6836363C
	v_lshlrev_b32_e32 v27, 2, v27                              // 00000000A678: 24363682
	v_mul_f32_e32 v148, s47, v148                              // 00000000A67C: 0B29282F
	v_mul_f32_e32 v149, s47, v149                              // 00000000A680: 0B2B2A2F
	v_mul_f32_e32 v150, s47, v150                              // 00000000A684: 0B2D2C2F
	v_mul_f32_e32 v151, s47, v151                              // 00000000A688: 0B2F2E2F
	v_mul_f32_e32 v152, s47, v152                              // 00000000A68C: 0B31302F
	v_mul_f32_e32 v153, s47, v153                              // 00000000A690: 0B33322F
	v_mul_f32_e32 v154, s47, v154                              // 00000000A694: 0B35342F
	v_mul_f32_e32 v155, s47, v155                              // 00000000A698: 0B37362F
	ds_write_b64 v22, v[148:149] offset:31232                  // 00000000A69C: D89A7A00 00009416
	ds_write_b64 v22, v[150:151] offset:31744                  // 00000000A6A4: D89A7C00 00009616
	ds_write_b64 v22, v[152:153] offset:32256                  // 00000000A6AC: D89A7E00 00009816
	ds_write_b64 v22, v[154:155] offset:32768                  // 00000000A6B4: D89A8000 00009A16
	s_waitcnt lgkmcnt(0)                                       // 00000000A6BC: BF8CC07F
	s_barrier                                                  // 00000000A6C0: BF8A0000
	ds_read_b64 v[156:157], v21 offset:31232                   // 00000000A6C4: D8EC7A00 9C000015
	ds_read_b64 v[158:159], v21 offset:33280                   // 00000000A6CC: D8EC8200 9E000015
	ds_read_b64 v[160:161], v21 offset:35328                   // 00000000A6D4: D8EC8A00 A0000015
	ds_read_b64 v[162:163], v21 offset:37376                   // 00000000A6DC: D8EC9200 A2000015
	s_waitcnt lgkmcnt(0)                                       // 00000000A6E4: BF8CC07F
	s_barrier                                                  // 00000000A6E8: BF8A0000
	buffer_atomic_add_f32 v156, v6, s[32:35], 0 idxen          // 00000000A6EC: E1342000 80089C06
	buffer_atomic_add_f32 v157, v7, s[32:35], 0 idxen          // 00000000A6F4: E1342000 80089D07
	buffer_atomic_add_f32 v158, v6, s[32:35], 0 idxen offset:128// 00000000A6FC: E1342080 80089E06
	buffer_atomic_add_f32 v159, v7, s[32:35], 0 idxen offset:128// 00000000A704: E1342080 80089F07
	buffer_atomic_add_f32 v160, v8, s[32:35], 0 idxen          // 00000000A70C: E1342000 8008A008
	buffer_atomic_add_f32 v161, v9, s[32:35], 0 idxen          // 00000000A714: E1342000 8008A109
	buffer_atomic_add_f32 v162, v8, s[32:35], 0 idxen offset:128// 00000000A71C: E1342080 8008A208
	buffer_atomic_add_f32 v163, v9, s[32:35], 0 idxen offset:128// 00000000A724: E1342080 8008A309
	v_lshrrev_b32_e32 v32, 3, v0                               // 00000000A72C: 20400083
	v_mul_i32_i24_e32 v26, 2, v32                              // 00000000A730: 0C344082
	v_and_b32_e32 v32, 7, v0                                   // 00000000A734: 26400087
	v_mul_i32_i24_e32 v33, 0x44, v32                           // 00000000A738: 0C4240FF 00000044
	v_add_u32_e32 v26, v33, v26                                // 00000000A740: 68343521
	s_mul_i32 s60, s46, 0x220                                  // 00000000A744: 923CFF2E 00000220
	v_add_u32_e32 v26, s60, v26                                // 00000000A74C: 6834343C
	v_lshlrev_b32_e32 v26, 2, v26                              // 00000000A750: 24343482
	v_accvgpr_read_b32 v34, a112                               // 00000000A754: D3D84022 18000170
	v_accvgpr_read_b32 v35, a113                               // 00000000A75C: D3D84023 18000171
	v_mul_f32_e32 v34, s47, v34                                // 00000000A764: 0A44442F
	v_mul_f32_e32 v35, s47, v35                                // 00000000A768: 0A46462F
	v_cmp_u_f32_e64 s[78:79], v34, v34                         // 00000000A76C: D048004E 00024522
	v_bfe_u32 v228, v34, 16, 1                                 // 00000000A774: D1C800E4 02052122
	v_add3_u32 v228, v34, v228, v231                           // 00000000A77C: D1FF00E4 079FC922
	v_cndmask_b32_e64 v32, v228, v230, s[78:79]                // 00000000A784: D1000020 013BCDE4
	v_lshrrev_b32_e32 v32, 16, v32                             // 00000000A78C: 20404090
	v_cmp_u_f32_e64 s[78:79], v35, v35                         // 00000000A790: D048004E 00024723
	v_bfe_u32 v228, v35, 16, 1                                 // 00000000A798: D1C800E4 02052123
	v_add3_u32 v228, v35, v228, v231                           // 00000000A7A0: D1FF00E4 079FC923
	v_cndmask_b32_e64 v33, v228, v230, s[78:79]                // 00000000A7A8: D1000021 013BCDE4
	v_and_or_b32 v52, v33, v229, v32                           // 00000000A7B0: D2010034 0483CB21
	v_accvgpr_read_b32 v34, a114                               // 00000000A7B8: D3D84022 18000172
	v_accvgpr_read_b32 v35, a115                               // 00000000A7C0: D3D84023 18000173
	v_mul_f32_e32 v34, s47, v34                                // 00000000A7C8: 0A44442F
	v_mul_f32_e32 v35, s47, v35                                // 00000000A7CC: 0A46462F
	v_cmp_u_f32_e64 s[78:79], v34, v34                         // 00000000A7D0: D048004E 00024522
	v_bfe_u32 v228, v34, 16, 1                                 // 00000000A7D8: D1C800E4 02052122
	v_add3_u32 v228, v34, v228, v231                           // 00000000A7E0: D1FF00E4 079FC922
	v_cndmask_b32_e64 v32, v228, v230, s[78:79]                // 00000000A7E8: D1000020 013BCDE4
	v_lshrrev_b32_e32 v32, 16, v32                             // 00000000A7F0: 20404090
	v_cmp_u_f32_e64 s[78:79], v35, v35                         // 00000000A7F4: D048004E 00024723
	v_bfe_u32 v228, v35, 16, 1                                 // 00000000A7FC: D1C800E4 02052123
	v_add3_u32 v228, v35, v228, v231                           // 00000000A804: D1FF00E4 079FC923
	v_cndmask_b32_e64 v33, v228, v230, s[78:79]                // 00000000A80C: D1000021 013BCDE4
	v_and_or_b32 v53, v33, v229, v32                           // 00000000A814: D2010035 0483CB21
	v_accvgpr_read_b32 v34, a116                               // 00000000A81C: D3D84022 18000174
	v_accvgpr_read_b32 v35, a117                               // 00000000A824: D3D84023 18000175
	v_mul_f32_e32 v34, s47, v34                                // 00000000A82C: 0A44442F
	v_mul_f32_e32 v35, s47, v35                                // 00000000A830: 0A46462F
	v_cmp_u_f32_e64 s[78:79], v34, v34                         // 00000000A834: D048004E 00024522
	v_bfe_u32 v228, v34, 16, 1                                 // 00000000A83C: D1C800E4 02052122
	v_add3_u32 v228, v34, v228, v231                           // 00000000A844: D1FF00E4 079FC922
	v_cndmask_b32_e64 v32, v228, v230, s[78:79]                // 00000000A84C: D1000020 013BCDE4
	v_lshrrev_b32_e32 v32, 16, v32                             // 00000000A854: 20404090
	v_cmp_u_f32_e64 s[78:79], v35, v35                         // 00000000A858: D048004E 00024723
	v_bfe_u32 v228, v35, 16, 1                                 // 00000000A860: D1C800E4 02052123
	v_add3_u32 v228, v35, v228, v231                           // 00000000A868: D1FF00E4 079FC923
	v_cndmask_b32_e64 v33, v228, v230, s[78:79]                // 00000000A870: D1000021 013BCDE4
	v_and_or_b32 v54, v33, v229, v32                           // 00000000A878: D2010036 0483CB21
	v_accvgpr_read_b32 v34, a118                               // 00000000A880: D3D84022 18000176
	v_accvgpr_read_b32 v35, a119                               // 00000000A888: D3D84023 18000177
	v_mul_f32_e32 v34, s47, v34                                // 00000000A890: 0A44442F
	v_mul_f32_e32 v35, s47, v35                                // 00000000A894: 0A46462F
	v_cmp_u_f32_e64 s[78:79], v34, v34                         // 00000000A898: D048004E 00024522
	v_bfe_u32 v228, v34, 16, 1                                 // 00000000A8A0: D1C800E4 02052122
	v_add3_u32 v228, v34, v228, v231                           // 00000000A8A8: D1FF00E4 079FC922
	v_cndmask_b32_e64 v32, v228, v230, s[78:79]                // 00000000A8B0: D1000020 013BCDE4
	v_lshrrev_b32_e32 v32, 16, v32                             // 00000000A8B8: 20404090
	v_cmp_u_f32_e64 s[78:79], v35, v35                         // 00000000A8BC: D048004E 00024723
	v_bfe_u32 v228, v35, 16, 1                                 // 00000000A8C4: D1C800E4 02052123
	v_add3_u32 v228, v35, v228, v231                           // 00000000A8CC: D1FF00E4 079FC923
	v_cndmask_b32_e64 v33, v228, v230, s[78:79]                // 00000000A8D4: D1000021 013BCDE4
	v_and_or_b32 v55, v33, v229, v32                           // 00000000A8DC: D2010037 0483CB21
	v_accvgpr_read_b32 v34, a120                               // 00000000A8E4: D3D84022 18000178
	v_accvgpr_read_b32 v35, a121                               // 00000000A8EC: D3D84023 18000179
	v_mul_f32_e32 v34, s47, v34                                // 00000000A8F4: 0A44442F
	v_mul_f32_e32 v35, s47, v35                                // 00000000A8F8: 0A46462F
	v_cmp_u_f32_e64 s[78:79], v34, v34                         // 00000000A8FC: D048004E 00024522
	v_bfe_u32 v228, v34, 16, 1                                 // 00000000A904: D1C800E4 02052122
	v_add3_u32 v228, v34, v228, v231                           // 00000000A90C: D1FF00E4 079FC922
	v_cndmask_b32_e64 v32, v228, v230, s[78:79]                // 00000000A914: D1000020 013BCDE4
	v_lshrrev_b32_e32 v32, 16, v32                             // 00000000A91C: 20404090
	v_cmp_u_f32_e64 s[78:79], v35, v35                         // 00000000A920: D048004E 00024723
	v_bfe_u32 v228, v35, 16, 1                                 // 00000000A928: D1C800E4 02052123
	v_add3_u32 v228, v35, v228, v231                           // 00000000A930: D1FF00E4 079FC923
	v_cndmask_b32_e64 v33, v228, v230, s[78:79]                // 00000000A938: D1000021 013BCDE4
	v_and_or_b32 v56, v33, v229, v32                           // 00000000A940: D2010038 0483CB21
	v_accvgpr_read_b32 v34, a122                               // 00000000A948: D3D84022 1800017A
	v_accvgpr_read_b32 v35, a123                               // 00000000A950: D3D84023 1800017B
	v_mul_f32_e32 v34, s47, v34                                // 00000000A958: 0A44442F
	v_mul_f32_e32 v35, s47, v35                                // 00000000A95C: 0A46462F
	v_cmp_u_f32_e64 s[78:79], v34, v34                         // 00000000A960: D048004E 00024522
	v_bfe_u32 v228, v34, 16, 1                                 // 00000000A968: D1C800E4 02052122
	v_add3_u32 v228, v34, v228, v231                           // 00000000A970: D1FF00E4 079FC922
	v_cndmask_b32_e64 v32, v228, v230, s[78:79]                // 00000000A978: D1000020 013BCDE4
	v_lshrrev_b32_e32 v32, 16, v32                             // 00000000A980: 20404090
	v_cmp_u_f32_e64 s[78:79], v35, v35                         // 00000000A984: D048004E 00024723
	v_bfe_u32 v228, v35, 16, 1                                 // 00000000A98C: D1C800E4 02052123
	v_add3_u32 v228, v35, v228, v231                           // 00000000A994: D1FF00E4 079FC923
	v_cndmask_b32_e64 v33, v228, v230, s[78:79]                // 00000000A99C: D1000021 013BCDE4
	v_and_or_b32 v57, v33, v229, v32                           // 00000000A9A4: D2010039 0483CB21
	v_accvgpr_read_b32 v34, a124                               // 00000000A9AC: D3D84022 1800017C
	v_accvgpr_read_b32 v35, a125                               // 00000000A9B4: D3D84023 1800017D
	v_mul_f32_e32 v34, s47, v34                                // 00000000A9BC: 0A44442F
	v_mul_f32_e32 v35, s47, v35                                // 00000000A9C0: 0A46462F
	v_cmp_u_f32_e64 s[78:79], v34, v34                         // 00000000A9C4: D048004E 00024522
	v_bfe_u32 v228, v34, 16, 1                                 // 00000000A9CC: D1C800E4 02052122
	v_add3_u32 v228, v34, v228, v231                           // 00000000A9D4: D1FF00E4 079FC922
	v_cndmask_b32_e64 v32, v228, v230, s[78:79]                // 00000000A9DC: D1000020 013BCDE4
	v_lshrrev_b32_e32 v32, 16, v32                             // 00000000A9E4: 20404090
	v_cmp_u_f32_e64 s[78:79], v35, v35                         // 00000000A9E8: D048004E 00024723
	v_bfe_u32 v228, v35, 16, 1                                 // 00000000A9F0: D1C800E4 02052123
	v_add3_u32 v228, v35, v228, v231                           // 00000000A9F8: D1FF00E4 079FC923
	v_cndmask_b32_e64 v33, v228, v230, s[78:79]                // 00000000AA00: D1000021 013BCDE4
	v_and_or_b32 v58, v33, v229, v32                           // 00000000AA08: D201003A 0483CB21
	v_accvgpr_read_b32 v34, a126                               // 00000000AA10: D3D84022 1800017E
	v_accvgpr_read_b32 v35, a127                               // 00000000AA18: D3D84023 1800017F
	v_mul_f32_e32 v34, s47, v34                                // 00000000AA20: 0A44442F
	v_mul_f32_e32 v35, s47, v35                                // 00000000AA24: 0A46462F
	v_cmp_u_f32_e64 s[78:79], v34, v34                         // 00000000AA28: D048004E 00024522
	v_bfe_u32 v228, v34, 16, 1                                 // 00000000AA30: D1C800E4 02052122
	v_add3_u32 v228, v34, v228, v231                           // 00000000AA38: D1FF00E4 079FC922
	v_cndmask_b32_e64 v32, v228, v230, s[78:79]                // 00000000AA40: D1000020 013BCDE4
	v_lshrrev_b32_e32 v32, 16, v32                             // 00000000AA48: 20404090
	v_cmp_u_f32_e64 s[78:79], v35, v35                         // 00000000AA4C: D048004E 00024723
	v_bfe_u32 v228, v35, 16, 1                                 // 00000000AA54: D1C800E4 02052123
	v_add3_u32 v228, v35, v228, v231                           // 00000000AA5C: D1FF00E4 079FC923
	v_cndmask_b32_e64 v33, v228, v230, s[78:79]                // 00000000AA64: D1000021 013BCDE4
	v_and_or_b32 v59, v33, v229, v32                           // 00000000AA6C: D201003B 0483CB21
	ds_write_b64 v27, v[52:53]                                 // 00000000AA74: D89A0000 0000341B
	ds_write_b64 v27, v[54:55] offset:544                      // 00000000AA7C: D89A0220 0000361B
	ds_write_b64 v27, v[56:57] offset:1088                     // 00000000AA84: D89A0440 0000381B
	ds_write_b64 v27, v[58:59] offset:1632                     // 00000000AA8C: D89A0660 00003A1B
	s_waitcnt lgkmcnt(0)                                       // 00000000AA94: BF8CC07F
	s_barrier                                                  // 00000000AA98: BF8A0000
	ds_read_b64 v[52:53], v26                                  // 00000000AA9C: D8EC0000 3400001A
	ds_read_b64 v[54:55], v26 offset:128                       // 00000000AAA4: D8EC0080 3600001A
	ds_read_b64 v[56:57], v26 offset:64                        // 00000000AAAC: D8EC0040 3800001A
	ds_read_b64 v[58:59], v26 offset:192                       // 00000000AAB4: D8EC00C0 3A00001A
	s_waitcnt lgkmcnt(0)                                       // 00000000AABC: BF8CC07F
	s_mov_b32 s70, s52                                         // 00000000AAC0: BEC60034
	buffer_store_dwordx4 v[52:55], v5, s[36:39], 0 idxen       // 00000000AAC4: E07C2000 80093405
	s_mul_i32 s60, 2, s70                                      // 00000000AACC: 923C4682
	v_add_u32_e32 v5, s60, v5                                  // 00000000AAD0: 680A0A3C
	buffer_store_dwordx4 v[56:59], v5, s[36:39], 0 idxen       // 00000000AAD4: E07C2000 80093805
	s_mul_i32 s60, 2, s70                                      // 00000000AADC: 923C4682
	v_add_u32_e32 v5, s60, v5                                  // 00000000AAE0: 680A0A3C
	s_mul_i32 s60, 12, s70                                     // 00000000AAE4: 923C468C
	v_add_u32_e32 v5, s60, v5                                  // 00000000AAE8: 680A0A3C
	s_barrier                                                  // 00000000AAEC: BF8A0000
	s_cmp_ge_i32 1, s72                                        // 00000000AAF0: BF034881
	s_cbranch_scc1 label_1D34                                  // 00000000AAF4: BF8501D2
	v_accvgpr_read_b32 v34, a128                               // 00000000AAF8: D3D84022 18000180
	v_accvgpr_read_b32 v35, a129                               // 00000000AB00: D3D84023 18000181
	v_mul_f32_e32 v34, s47, v34                                // 00000000AB08: 0A44442F
	v_mul_f32_e32 v35, s47, v35                                // 00000000AB0C: 0A46462F
	v_cmp_u_f32_e64 s[78:79], v34, v34                         // 00000000AB10: D048004E 00024522
	v_bfe_u32 v228, v34, 16, 1                                 // 00000000AB18: D1C800E4 02052122
	v_add3_u32 v228, v34, v228, v231                           // 00000000AB20: D1FF00E4 079FC922
	v_cndmask_b32_e64 v32, v228, v230, s[78:79]                // 00000000AB28: D1000020 013BCDE4
	v_lshrrev_b32_e32 v32, 16, v32                             // 00000000AB30: 20404090
	v_cmp_u_f32_e64 s[78:79], v35, v35                         // 00000000AB34: D048004E 00024723
	v_bfe_u32 v228, v35, 16, 1                                 // 00000000AB3C: D1C800E4 02052123
	v_add3_u32 v228, v35, v228, v231                           // 00000000AB44: D1FF00E4 079FC923
	v_cndmask_b32_e64 v33, v228, v230, s[78:79]                // 00000000AB4C: D1000021 013BCDE4
	v_and_or_b32 v60, v33, v229, v32                           // 00000000AB54: D201003C 0483CB21
	v_accvgpr_read_b32 v34, a130                               // 00000000AB5C: D3D84022 18000182
	v_accvgpr_read_b32 v35, a131                               // 00000000AB64: D3D84023 18000183
	v_mul_f32_e32 v34, s47, v34                                // 00000000AB6C: 0A44442F
	v_mul_f32_e32 v35, s47, v35                                // 00000000AB70: 0A46462F
	v_cmp_u_f32_e64 s[78:79], v34, v34                         // 00000000AB74: D048004E 00024522
	v_bfe_u32 v228, v34, 16, 1                                 // 00000000AB7C: D1C800E4 02052122
	v_add3_u32 v228, v34, v228, v231                           // 00000000AB84: D1FF00E4 079FC922
	v_cndmask_b32_e64 v32, v228, v230, s[78:79]                // 00000000AB8C: D1000020 013BCDE4
	v_lshrrev_b32_e32 v32, 16, v32                             // 00000000AB94: 20404090
	v_cmp_u_f32_e64 s[78:79], v35, v35                         // 00000000AB98: D048004E 00024723
	v_bfe_u32 v228, v35, 16, 1                                 // 00000000ABA0: D1C800E4 02052123
	v_add3_u32 v228, v35, v228, v231                           // 00000000ABA8: D1FF00E4 079FC923
	v_cndmask_b32_e64 v33, v228, v230, s[78:79]                // 00000000ABB0: D1000021 013BCDE4
	v_and_or_b32 v61, v33, v229, v32                           // 00000000ABB8: D201003D 0483CB21
	v_accvgpr_read_b32 v34, a132                               // 00000000ABC0: D3D84022 18000184
	v_accvgpr_read_b32 v35, a133                               // 00000000ABC8: D3D84023 18000185
	v_mul_f32_e32 v34, s47, v34                                // 00000000ABD0: 0A44442F
	v_mul_f32_e32 v35, s47, v35                                // 00000000ABD4: 0A46462F
	v_cmp_u_f32_e64 s[78:79], v34, v34                         // 00000000ABD8: D048004E 00024522
	v_bfe_u32 v228, v34, 16, 1                                 // 00000000ABE0: D1C800E4 02052122
	v_add3_u32 v228, v34, v228, v231                           // 00000000ABE8: D1FF00E4 079FC922
	v_cndmask_b32_e64 v32, v228, v230, s[78:79]                // 00000000ABF0: D1000020 013BCDE4
	v_lshrrev_b32_e32 v32, 16, v32                             // 00000000ABF8: 20404090
	v_cmp_u_f32_e64 s[78:79], v35, v35                         // 00000000ABFC: D048004E 00024723
	v_bfe_u32 v228, v35, 16, 1                                 // 00000000AC04: D1C800E4 02052123
	v_add3_u32 v228, v35, v228, v231                           // 00000000AC0C: D1FF00E4 079FC923
	v_cndmask_b32_e64 v33, v228, v230, s[78:79]                // 00000000AC14: D1000021 013BCDE4
	v_and_or_b32 v62, v33, v229, v32                           // 00000000AC1C: D201003E 0483CB21
	v_accvgpr_read_b32 v34, a134                               // 00000000AC24: D3D84022 18000186
	v_accvgpr_read_b32 v35, a135                               // 00000000AC2C: D3D84023 18000187
	v_mul_f32_e32 v34, s47, v34                                // 00000000AC34: 0A44442F
	v_mul_f32_e32 v35, s47, v35                                // 00000000AC38: 0A46462F
	v_cmp_u_f32_e64 s[78:79], v34, v34                         // 00000000AC3C: D048004E 00024522
	v_bfe_u32 v228, v34, 16, 1                                 // 00000000AC44: D1C800E4 02052122
	v_add3_u32 v228, v34, v228, v231                           // 00000000AC4C: D1FF00E4 079FC922
	v_cndmask_b32_e64 v32, v228, v230, s[78:79]                // 00000000AC54: D1000020 013BCDE4
	v_lshrrev_b32_e32 v32, 16, v32                             // 00000000AC5C: 20404090
	v_cmp_u_f32_e64 s[78:79], v35, v35                         // 00000000AC60: D048004E 00024723
	v_bfe_u32 v228, v35, 16, 1                                 // 00000000AC68: D1C800E4 02052123
	v_add3_u32 v228, v35, v228, v231                           // 00000000AC70: D1FF00E4 079FC923
	v_cndmask_b32_e64 v33, v228, v230, s[78:79]                // 00000000AC78: D1000021 013BCDE4
	v_and_or_b32 v63, v33, v229, v32                           // 00000000AC80: D201003F 0483CB21
	v_accvgpr_read_b32 v34, a136                               // 00000000AC88: D3D84022 18000188
	v_accvgpr_read_b32 v35, a137                               // 00000000AC90: D3D84023 18000189
	v_mul_f32_e32 v34, s47, v34                                // 00000000AC98: 0A44442F
	v_mul_f32_e32 v35, s47, v35                                // 00000000AC9C: 0A46462F
	v_cmp_u_f32_e64 s[78:79], v34, v34                         // 00000000ACA0: D048004E 00024522
	v_bfe_u32 v228, v34, 16, 1                                 // 00000000ACA8: D1C800E4 02052122
	v_add3_u32 v228, v34, v228, v231                           // 00000000ACB0: D1FF00E4 079FC922
	v_cndmask_b32_e64 v32, v228, v230, s[78:79]                // 00000000ACB8: D1000020 013BCDE4
	v_lshrrev_b32_e32 v32, 16, v32                             // 00000000ACC0: 20404090
	v_cmp_u_f32_e64 s[78:79], v35, v35                         // 00000000ACC4: D048004E 00024723
	v_bfe_u32 v228, v35, 16, 1                                 // 00000000ACCC: D1C800E4 02052123
	v_add3_u32 v228, v35, v228, v231                           // 00000000ACD4: D1FF00E4 079FC923
	v_cndmask_b32_e64 v33, v228, v230, s[78:79]                // 00000000ACDC: D1000021 013BCDE4
	v_and_or_b32 v64, v33, v229, v32                           // 00000000ACE4: D2010040 0483CB21
	v_accvgpr_read_b32 v34, a138                               // 00000000ACEC: D3D84022 1800018A
	v_accvgpr_read_b32 v35, a139                               // 00000000ACF4: D3D84023 1800018B
	v_mul_f32_e32 v34, s47, v34                                // 00000000ACFC: 0A44442F
	v_mul_f32_e32 v35, s47, v35                                // 00000000AD00: 0A46462F
	v_cmp_u_f32_e64 s[78:79], v34, v34                         // 00000000AD04: D048004E 00024522
	v_bfe_u32 v228, v34, 16, 1                                 // 00000000AD0C: D1C800E4 02052122
	v_add3_u32 v228, v34, v228, v231                           // 00000000AD14: D1FF00E4 079FC922
	v_cndmask_b32_e64 v32, v228, v230, s[78:79]                // 00000000AD1C: D1000020 013BCDE4
	v_lshrrev_b32_e32 v32, 16, v32                             // 00000000AD24: 20404090
	v_cmp_u_f32_e64 s[78:79], v35, v35                         // 00000000AD28: D048004E 00024723
	v_bfe_u32 v228, v35, 16, 1                                 // 00000000AD30: D1C800E4 02052123
	v_add3_u32 v228, v35, v228, v231                           // 00000000AD38: D1FF00E4 079FC923
	v_cndmask_b32_e64 v33, v228, v230, s[78:79]                // 00000000AD40: D1000021 013BCDE4
	v_and_or_b32 v65, v33, v229, v32                           // 00000000AD48: D2010041 0483CB21
	v_accvgpr_read_b32 v34, a140                               // 00000000AD50: D3D84022 1800018C
	v_accvgpr_read_b32 v35, a141                               // 00000000AD58: D3D84023 1800018D
	v_mul_f32_e32 v34, s47, v34                                // 00000000AD60: 0A44442F
	v_mul_f32_e32 v35, s47, v35                                // 00000000AD64: 0A46462F
	v_cmp_u_f32_e64 s[78:79], v34, v34                         // 00000000AD68: D048004E 00024522
	v_bfe_u32 v228, v34, 16, 1                                 // 00000000AD70: D1C800E4 02052122
	v_add3_u32 v228, v34, v228, v231                           // 00000000AD78: D1FF00E4 079FC922
	v_cndmask_b32_e64 v32, v228, v230, s[78:79]                // 00000000AD80: D1000020 013BCDE4
	v_lshrrev_b32_e32 v32, 16, v32                             // 00000000AD88: 20404090
	v_cmp_u_f32_e64 s[78:79], v35, v35                         // 00000000AD8C: D048004E 00024723
	v_bfe_u32 v228, v35, 16, 1                                 // 00000000AD94: D1C800E4 02052123
	v_add3_u32 v228, v35, v228, v231                           // 00000000AD9C: D1FF00E4 079FC923
	v_cndmask_b32_e64 v33, v228, v230, s[78:79]                // 00000000ADA4: D1000021 013BCDE4
	v_and_or_b32 v66, v33, v229, v32                           // 00000000ADAC: D2010042 0483CB21
	v_accvgpr_read_b32 v34, a142                               // 00000000ADB4: D3D84022 1800018E
	v_accvgpr_read_b32 v35, a143                               // 00000000ADBC: D3D84023 1800018F
	v_mul_f32_e32 v34, s47, v34                                // 00000000ADC4: 0A44442F
	v_mul_f32_e32 v35, s47, v35                                // 00000000ADC8: 0A46462F
	v_cmp_u_f32_e64 s[78:79], v34, v34                         // 00000000ADCC: D048004E 00024522
	v_bfe_u32 v228, v34, 16, 1                                 // 00000000ADD4: D1C800E4 02052122
	v_add3_u32 v228, v34, v228, v231                           // 00000000ADDC: D1FF00E4 079FC922
	v_cndmask_b32_e64 v32, v228, v230, s[78:79]                // 00000000ADE4: D1000020 013BCDE4
	v_lshrrev_b32_e32 v32, 16, v32                             // 00000000ADEC: 20404090
	v_cmp_u_f32_e64 s[78:79], v35, v35                         // 00000000ADF0: D048004E 00024723
	v_bfe_u32 v228, v35, 16, 1                                 // 00000000ADF8: D1C800E4 02052123
	v_add3_u32 v228, v35, v228, v231                           // 00000000AE00: D1FF00E4 079FC923
	v_cndmask_b32_e64 v33, v228, v230, s[78:79]                // 00000000AE08: D1000021 013BCDE4
	v_and_or_b32 v67, v33, v229, v32                           // 00000000AE10: D2010043 0483CB21
	ds_write_b64 v27, v[60:61] offset:8704                     // 00000000AE18: D89A2200 00003C1B
	ds_write_b64 v27, v[62:63] offset:9248                     // 00000000AE20: D89A2420 00003E1B
	ds_write_b64 v27, v[64:65] offset:9792                     // 00000000AE28: D89A2640 0000401B
	ds_write_b64 v27, v[66:67] offset:10336                    // 00000000AE30: D89A2860 0000421B
	s_waitcnt lgkmcnt(0)                                       // 00000000AE38: BF8CC07F
	s_barrier                                                  // 00000000AE3C: BF8A0000
	ds_read_b64 v[60:61], v26 offset:8704                      // 00000000AE40: D8EC2200 3C00001A
	ds_read_b64 v[62:63], v26 offset:8832                      // 00000000AE48: D8EC2280 3E00001A
	ds_read_b64 v[64:65], v26 offset:8768                      // 00000000AE50: D8EC2240 4000001A
	ds_read_b64 v[66:67], v26 offset:8896                      // 00000000AE58: D8EC22C0 4200001A
	s_waitcnt lgkmcnt(0)                                       // 00000000AE60: BF8CC07F
	s_mov_b32 s70, s52                                         // 00000000AE64: BEC60034
	buffer_store_dwordx4 v[60:63], v5, s[36:39], 0 idxen       // 00000000AE68: E07C2000 80093C05
	s_mul_i32 s60, 2, s70                                      // 00000000AE70: 923C4682
	v_add_u32_e32 v5, s60, v5                                  // 00000000AE74: 680A0A3C
	buffer_store_dwordx4 v[64:67], v5, s[36:39], 0 idxen       // 00000000AE78: E07C2000 80094005
	s_mul_i32 s60, 2, s70                                      // 00000000AE80: 923C4682
	v_add_u32_e32 v5, s60, v5                                  // 00000000AE84: 680A0A3C
	s_mul_i32 s60, 12, s70                                     // 00000000AE88: 923C468C
	v_add_u32_e32 v5, s60, v5                                  // 00000000AE8C: 680A0A3C
	s_barrier                                                  // 00000000AE90: BF8A0000
	s_cmp_ge_i32 2, s72                                        // 00000000AE94: BF034882
	s_cbranch_scc1 label_1D34                                  // 00000000AE98: BF8500E9
	v_accvgpr_read_b32 v34, a144                               // 00000000AE9C: D3D84022 18000190
	v_accvgpr_read_b32 v35, a145                               // 00000000AEA4: D3D84023 18000191
	v_mul_f32_e32 v34, s47, v34                                // 00000000AEAC: 0A44442F
	v_mul_f32_e32 v35, s47, v35                                // 00000000AEB0: 0A46462F
	v_cmp_u_f32_e64 s[78:79], v34, v34                         // 00000000AEB4: D048004E 00024522
	v_bfe_u32 v228, v34, 16, 1                                 // 00000000AEBC: D1C800E4 02052122
	v_add3_u32 v228, v34, v228, v231                           // 00000000AEC4: D1FF00E4 079FC922
	v_cndmask_b32_e64 v32, v228, v230, s[78:79]                // 00000000AECC: D1000020 013BCDE4
	v_lshrrev_b32_e32 v32, 16, v32                             // 00000000AED4: 20404090
	v_cmp_u_f32_e64 s[78:79], v35, v35                         // 00000000AED8: D048004E 00024723
	v_bfe_u32 v228, v35, 16, 1                                 // 00000000AEE0: D1C800E4 02052123
	v_add3_u32 v228, v35, v228, v231                           // 00000000AEE8: D1FF00E4 079FC923
	v_cndmask_b32_e64 v33, v228, v230, s[78:79]                // 00000000AEF0: D1000021 013BCDE4
	v_and_or_b32 v68, v33, v229, v32                           // 00000000AEF8: D2010044 0483CB21
	v_accvgpr_read_b32 v34, a146                               // 00000000AF00: D3D84022 18000192
	v_accvgpr_read_b32 v35, a147                               // 00000000AF08: D3D84023 18000193
	v_mul_f32_e32 v34, s47, v34                                // 00000000AF10: 0A44442F
	v_mul_f32_e32 v35, s47, v35                                // 00000000AF14: 0A46462F
	v_cmp_u_f32_e64 s[78:79], v34, v34                         // 00000000AF18: D048004E 00024522
	v_bfe_u32 v228, v34, 16, 1                                 // 00000000AF20: D1C800E4 02052122
	v_add3_u32 v228, v34, v228, v231                           // 00000000AF28: D1FF00E4 079FC922
	v_cndmask_b32_e64 v32, v228, v230, s[78:79]                // 00000000AF30: D1000020 013BCDE4
	v_lshrrev_b32_e32 v32, 16, v32                             // 00000000AF38: 20404090
	v_cmp_u_f32_e64 s[78:79], v35, v35                         // 00000000AF3C: D048004E 00024723
	v_bfe_u32 v228, v35, 16, 1                                 // 00000000AF44: D1C800E4 02052123
	v_add3_u32 v228, v35, v228, v231                           // 00000000AF4C: D1FF00E4 079FC923
	v_cndmask_b32_e64 v33, v228, v230, s[78:79]                // 00000000AF54: D1000021 013BCDE4
	v_and_or_b32 v69, v33, v229, v32                           // 00000000AF5C: D2010045 0483CB21
	v_accvgpr_read_b32 v34, a148                               // 00000000AF64: D3D84022 18000194
	v_accvgpr_read_b32 v35, a149                               // 00000000AF6C: D3D84023 18000195
	v_mul_f32_e32 v34, s47, v34                                // 00000000AF74: 0A44442F
	v_mul_f32_e32 v35, s47, v35                                // 00000000AF78: 0A46462F
	v_cmp_u_f32_e64 s[78:79], v34, v34                         // 00000000AF7C: D048004E 00024522
	v_bfe_u32 v228, v34, 16, 1                                 // 00000000AF84: D1C800E4 02052122
	v_add3_u32 v228, v34, v228, v231                           // 00000000AF8C: D1FF00E4 079FC922
	v_cndmask_b32_e64 v32, v228, v230, s[78:79]                // 00000000AF94: D1000020 013BCDE4
	v_lshrrev_b32_e32 v32, 16, v32                             // 00000000AF9C: 20404090
	v_cmp_u_f32_e64 s[78:79], v35, v35                         // 00000000AFA0: D048004E 00024723
	v_bfe_u32 v228, v35, 16, 1                                 // 00000000AFA8: D1C800E4 02052123
	v_add3_u32 v228, v35, v228, v231                           // 00000000AFB0: D1FF00E4 079FC923
	v_cndmask_b32_e64 v33, v228, v230, s[78:79]                // 00000000AFB8: D1000021 013BCDE4
	v_and_or_b32 v70, v33, v229, v32                           // 00000000AFC0: D2010046 0483CB21
	v_accvgpr_read_b32 v34, a150                               // 00000000AFC8: D3D84022 18000196
	v_accvgpr_read_b32 v35, a151                               // 00000000AFD0: D3D84023 18000197
	v_mul_f32_e32 v34, s47, v34                                // 00000000AFD8: 0A44442F
	v_mul_f32_e32 v35, s47, v35                                // 00000000AFDC: 0A46462F
	v_cmp_u_f32_e64 s[78:79], v34, v34                         // 00000000AFE0: D048004E 00024522
	v_bfe_u32 v228, v34, 16, 1                                 // 00000000AFE8: D1C800E4 02052122
	v_add3_u32 v228, v34, v228, v231                           // 00000000AFF0: D1FF00E4 079FC922
	v_cndmask_b32_e64 v32, v228, v230, s[78:79]                // 00000000AFF8: D1000020 013BCDE4
	v_lshrrev_b32_e32 v32, 16, v32                             // 00000000B000: 20404090
	v_cmp_u_f32_e64 s[78:79], v35, v35                         // 00000000B004: D048004E 00024723
	v_bfe_u32 v228, v35, 16, 1                                 // 00000000B00C: D1C800E4 02052123
	v_add3_u32 v228, v35, v228, v231                           // 00000000B014: D1FF00E4 079FC923
	v_cndmask_b32_e64 v33, v228, v230, s[78:79]                // 00000000B01C: D1000021 013BCDE4
	v_and_or_b32 v71, v33, v229, v32                           // 00000000B024: D2010047 0483CB21
	v_accvgpr_read_b32 v34, a152                               // 00000000B02C: D3D84022 18000198
	v_accvgpr_read_b32 v35, a153                               // 00000000B034: D3D84023 18000199
	v_mul_f32_e32 v34, s47, v34                                // 00000000B03C: 0A44442F
	v_mul_f32_e32 v35, s47, v35                                // 00000000B040: 0A46462F
	v_cmp_u_f32_e64 s[78:79], v34, v34                         // 00000000B044: D048004E 00024522
	v_bfe_u32 v228, v34, 16, 1                                 // 00000000B04C: D1C800E4 02052122
	v_add3_u32 v228, v34, v228, v231                           // 00000000B054: D1FF00E4 079FC922
	v_cndmask_b32_e64 v32, v228, v230, s[78:79]                // 00000000B05C: D1000020 013BCDE4
	v_lshrrev_b32_e32 v32, 16, v32                             // 00000000B064: 20404090
	v_cmp_u_f32_e64 s[78:79], v35, v35                         // 00000000B068: D048004E 00024723
	v_bfe_u32 v228, v35, 16, 1                                 // 00000000B070: D1C800E4 02052123
	v_add3_u32 v228, v35, v228, v231                           // 00000000B078: D1FF00E4 079FC923
	v_cndmask_b32_e64 v33, v228, v230, s[78:79]                // 00000000B080: D1000021 013BCDE4
	v_and_or_b32 v72, v33, v229, v32                           // 00000000B088: D2010048 0483CB21
	v_accvgpr_read_b32 v34, a154                               // 00000000B090: D3D84022 1800019A
	v_accvgpr_read_b32 v35, a155                               // 00000000B098: D3D84023 1800019B
	v_mul_f32_e32 v34, s47, v34                                // 00000000B0A0: 0A44442F
	v_mul_f32_e32 v35, s47, v35                                // 00000000B0A4: 0A46462F
	v_cmp_u_f32_e64 s[78:79], v34, v34                         // 00000000B0A8: D048004E 00024522
	v_bfe_u32 v228, v34, 16, 1                                 // 00000000B0B0: D1C800E4 02052122
	v_add3_u32 v228, v34, v228, v231                           // 00000000B0B8: D1FF00E4 079FC922
	v_cndmask_b32_e64 v32, v228, v230, s[78:79]                // 00000000B0C0: D1000020 013BCDE4
	v_lshrrev_b32_e32 v32, 16, v32                             // 00000000B0C8: 20404090
	v_cmp_u_f32_e64 s[78:79], v35, v35                         // 00000000B0CC: D048004E 00024723
	v_bfe_u32 v228, v35, 16, 1                                 // 00000000B0D4: D1C800E4 02052123
	v_add3_u32 v228, v35, v228, v231                           // 00000000B0DC: D1FF00E4 079FC923
	v_cndmask_b32_e64 v33, v228, v230, s[78:79]                // 00000000B0E4: D1000021 013BCDE4
	v_and_or_b32 v73, v33, v229, v32                           // 00000000B0EC: D2010049 0483CB21
	v_accvgpr_read_b32 v34, a156                               // 00000000B0F4: D3D84022 1800019C
	v_accvgpr_read_b32 v35, a157                               // 00000000B0FC: D3D84023 1800019D
	v_mul_f32_e32 v34, s47, v34                                // 00000000B104: 0A44442F
	v_mul_f32_e32 v35, s47, v35                                // 00000000B108: 0A46462F
	v_cmp_u_f32_e64 s[78:79], v34, v34                         // 00000000B10C: D048004E 00024522
	v_bfe_u32 v228, v34, 16, 1                                 // 00000000B114: D1C800E4 02052122
	v_add3_u32 v228, v34, v228, v231                           // 00000000B11C: D1FF00E4 079FC922
	v_cndmask_b32_e64 v32, v228, v230, s[78:79]                // 00000000B124: D1000020 013BCDE4
	v_lshrrev_b32_e32 v32, 16, v32                             // 00000000B12C: 20404090
	v_cmp_u_f32_e64 s[78:79], v35, v35                         // 00000000B130: D048004E 00024723
	v_bfe_u32 v228, v35, 16, 1                                 // 00000000B138: D1C800E4 02052123
	v_add3_u32 v228, v35, v228, v231                           // 00000000B140: D1FF00E4 079FC923
	v_cndmask_b32_e64 v33, v228, v230, s[78:79]                // 00000000B148: D1000021 013BCDE4
	v_and_or_b32 v74, v33, v229, v32                           // 00000000B150: D201004A 0483CB21
	v_accvgpr_read_b32 v34, a158                               // 00000000B158: D3D84022 1800019E
	v_accvgpr_read_b32 v35, a159                               // 00000000B160: D3D84023 1800019F
	v_mul_f32_e32 v34, s47, v34                                // 00000000B168: 0A44442F
	v_mul_f32_e32 v35, s47, v35                                // 00000000B16C: 0A46462F
	v_cmp_u_f32_e64 s[78:79], v34, v34                         // 00000000B170: D048004E 00024522
	v_bfe_u32 v228, v34, 16, 1                                 // 00000000B178: D1C800E4 02052122
	v_add3_u32 v228, v34, v228, v231                           // 00000000B180: D1FF00E4 079FC922
	v_cndmask_b32_e64 v32, v228, v230, s[78:79]                // 00000000B188: D1000020 013BCDE4
	v_lshrrev_b32_e32 v32, 16, v32                             // 00000000B190: 20404090
	v_cmp_u_f32_e64 s[78:79], v35, v35                         // 00000000B194: D048004E 00024723
	v_bfe_u32 v228, v35, 16, 1                                 // 00000000B19C: D1C800E4 02052123
	v_add3_u32 v228, v35, v228, v231                           // 00000000B1A4: D1FF00E4 079FC923
	v_cndmask_b32_e64 v33, v228, v230, s[78:79]                // 00000000B1AC: D1000021 013BCDE4
	v_and_or_b32 v75, v33, v229, v32                           // 00000000B1B4: D201004B 0483CB21
	ds_write_b64 v27, v[68:69] offset:17408                    // 00000000B1BC: D89A4400 0000441B
	ds_write_b64 v27, v[70:71] offset:17952                    // 00000000B1C4: D89A4620 0000461B
	ds_write_b64 v27, v[72:73] offset:18496                    // 00000000B1CC: D89A4840 0000481B
	ds_write_b64 v27, v[74:75] offset:19040                    // 00000000B1D4: D89A4A60 00004A1B
	s_waitcnt lgkmcnt(0)                                       // 00000000B1DC: BF8CC07F
	s_barrier                                                  // 00000000B1E0: BF8A0000
	ds_read_b64 v[68:69], v26 offset:17408                     // 00000000B1E4: D8EC4400 4400001A
	ds_read_b64 v[70:71], v26 offset:17536                     // 00000000B1EC: D8EC4480 4600001A
	ds_read_b64 v[72:73], v26 offset:17472                     // 00000000B1F4: D8EC4440 4800001A
	ds_read_b64 v[74:75], v26 offset:17600                     // 00000000B1FC: D8EC44C0 4A00001A
	s_waitcnt lgkmcnt(0)                                       // 00000000B204: BF8CC07F
	s_mov_b32 s70, s52                                         // 00000000B208: BEC60034
	buffer_store_dwordx4 v[68:71], v5, s[36:39], 0 idxen       // 00000000B20C: E07C2000 80094405
	s_mul_i32 s60, 2, s70                                      // 00000000B214: 923C4682
	v_add_u32_e32 v5, s60, v5                                  // 00000000B218: 680A0A3C
	buffer_store_dwordx4 v[72:75], v5, s[36:39], 0 idxen       // 00000000B21C: E07C2000 80094805
	s_mul_i32 s60, 2, s70                                      // 00000000B224: 923C4682
	v_add_u32_e32 v5, s60, v5                                  // 00000000B228: 680A0A3C
	s_mul_i32 s60, 12, s70                                     // 00000000B22C: 923C468C
	v_add_u32_e32 v5, s60, v5                                  // 00000000B230: 680A0A3C
	s_barrier                                                  // 00000000B234: BF8A0000
	s_cmp_ge_i32 3, s72                                        // 00000000B238: BF034883
	s_cbranch_scc1 label_1D34                                  // 00000000B23C: BF850000

000000000000b240 <label_1D34>:
	v_mov_b32_e32 v34, v180                                    // 00000000B240: 7E4403B4
	v_mov_b32_e32 v35, v181                                    // 00000000B244: 7E4603B5
	v_cmp_u_f32_e64 s[78:79], v34, v34                         // 00000000B248: D048004E 00024522
	v_bfe_u32 v228, v34, 16, 1                                 // 00000000B250: D1C800E4 02052122
	v_add3_u32 v228, v34, v228, v231                           // 00000000B258: D1FF00E4 079FC922
	v_cndmask_b32_e64 v32, v228, v230, s[78:79]                // 00000000B260: D1000020 013BCDE4
	v_lshrrev_b32_e32 v32, 16, v32                             // 00000000B268: 20404090
	v_cmp_u_f32_e64 s[78:79], v35, v35                         // 00000000B26C: D048004E 00024723
	v_bfe_u32 v228, v35, 16, 1                                 // 00000000B274: D1C800E4 02052123
	v_add3_u32 v228, v35, v228, v231                           // 00000000B27C: D1FF00E4 079FC923
	v_cndmask_b32_e64 v33, v228, v230, s[78:79]                // 00000000B284: D1000021 013BCDE4
	v_and_or_b32 v180, v33, v229, v32                          // 00000000B28C: D20100B4 0483CB21
	v_mov_b32_e32 v34, v182                                    // 00000000B294: 7E4403B6
	v_mov_b32_e32 v35, v183                                    // 00000000B298: 7E4603B7
	v_cmp_u_f32_e64 s[78:79], v34, v34                         // 00000000B29C: D048004E 00024522
	v_bfe_u32 v228, v34, 16, 1                                 // 00000000B2A4: D1C800E4 02052122
	v_add3_u32 v228, v34, v228, v231                           // 00000000B2AC: D1FF00E4 079FC922
	v_cndmask_b32_e64 v32, v228, v230, s[78:79]                // 00000000B2B4: D1000020 013BCDE4
	v_lshrrev_b32_e32 v32, 16, v32                             // 00000000B2BC: 20404090
	v_cmp_u_f32_e64 s[78:79], v35, v35                         // 00000000B2C0: D048004E 00024723
	v_bfe_u32 v228, v35, 16, 1                                 // 00000000B2C8: D1C800E4 02052123
	v_add3_u32 v228, v35, v228, v231                           // 00000000B2D0: D1FF00E4 079FC923
	v_cndmask_b32_e64 v33, v228, v230, s[78:79]                // 00000000B2D8: D1000021 013BCDE4
	v_and_or_b32 v181, v33, v229, v32                          // 00000000B2E0: D20100B5 0483CB21
	v_mov_b32_e32 v34, v184                                    // 00000000B2E8: 7E4403B8
	v_mov_b32_e32 v35, v185                                    // 00000000B2EC: 7E4603B9
	v_cmp_u_f32_e64 s[78:79], v34, v34                         // 00000000B2F0: D048004E 00024522
	v_bfe_u32 v228, v34, 16, 1                                 // 00000000B2F8: D1C800E4 02052122
	v_add3_u32 v228, v34, v228, v231                           // 00000000B300: D1FF00E4 079FC922
	v_cndmask_b32_e64 v32, v228, v230, s[78:79]                // 00000000B308: D1000020 013BCDE4
	v_lshrrev_b32_e32 v32, 16, v32                             // 00000000B310: 20404090
	v_cmp_u_f32_e64 s[78:79], v35, v35                         // 00000000B314: D048004E 00024723
	v_bfe_u32 v228, v35, 16, 1                                 // 00000000B31C: D1C800E4 02052123
	v_add3_u32 v228, v35, v228, v231                           // 00000000B324: D1FF00E4 079FC923
	v_cndmask_b32_e64 v33, v228, v230, s[78:79]                // 00000000B32C: D1000021 013BCDE4
	v_and_or_b32 v182, v33, v229, v32                          // 00000000B334: D20100B6 0483CB21
	v_mov_b32_e32 v34, v186                                    // 00000000B33C: 7E4403BA
	v_mov_b32_e32 v35, v187                                    // 00000000B340: 7E4603BB
	v_cmp_u_f32_e64 s[78:79], v34, v34                         // 00000000B344: D048004E 00024522
	v_bfe_u32 v228, v34, 16, 1                                 // 00000000B34C: D1C800E4 02052122
	v_add3_u32 v228, v34, v228, v231                           // 00000000B354: D1FF00E4 079FC922
	v_cndmask_b32_e64 v32, v228, v230, s[78:79]                // 00000000B35C: D1000020 013BCDE4
	v_lshrrev_b32_e32 v32, 16, v32                             // 00000000B364: 20404090
	v_cmp_u_f32_e64 s[78:79], v35, v35                         // 00000000B368: D048004E 00024723
	v_bfe_u32 v228, v35, 16, 1                                 // 00000000B370: D1C800E4 02052123
	v_add3_u32 v228, v35, v228, v231                           // 00000000B378: D1FF00E4 079FC923
	v_cndmask_b32_e64 v33, v228, v230, s[78:79]                // 00000000B380: D1000021 013BCDE4
	v_and_or_b32 v183, v33, v229, v32                          // 00000000B388: D20100B7 0483CB21
	v_mov_b32_e32 v34, v188                                    // 00000000B390: 7E4403BC
	v_mov_b32_e32 v35, v189                                    // 00000000B394: 7E4603BD
	v_cmp_u_f32_e64 s[78:79], v34, v34                         // 00000000B398: D048004E 00024522
	v_bfe_u32 v228, v34, 16, 1                                 // 00000000B3A0: D1C800E4 02052122
	v_add3_u32 v228, v34, v228, v231                           // 00000000B3A8: D1FF00E4 079FC922
	v_cndmask_b32_e64 v32, v228, v230, s[78:79]                // 00000000B3B0: D1000020 013BCDE4
	v_lshrrev_b32_e32 v32, 16, v32                             // 00000000B3B8: 20404090
	v_cmp_u_f32_e64 s[78:79], v35, v35                         // 00000000B3BC: D048004E 00024723
	v_bfe_u32 v228, v35, 16, 1                                 // 00000000B3C4: D1C800E4 02052123
	v_add3_u32 v228, v35, v228, v231                           // 00000000B3CC: D1FF00E4 079FC923
	v_cndmask_b32_e64 v33, v228, v230, s[78:79]                // 00000000B3D4: D1000021 013BCDE4
	v_and_or_b32 v184, v33, v229, v32                          // 00000000B3DC: D20100B8 0483CB21
	v_mov_b32_e32 v34, v190                                    // 00000000B3E4: 7E4403BE
	v_mov_b32_e32 v35, v191                                    // 00000000B3E8: 7E4603BF
	v_cmp_u_f32_e64 s[78:79], v34, v34                         // 00000000B3EC: D048004E 00024522
	v_bfe_u32 v228, v34, 16, 1                                 // 00000000B3F4: D1C800E4 02052122
	v_add3_u32 v228, v34, v228, v231                           // 00000000B3FC: D1FF00E4 079FC922
	v_cndmask_b32_e64 v32, v228, v230, s[78:79]                // 00000000B404: D1000020 013BCDE4
	v_lshrrev_b32_e32 v32, 16, v32                             // 00000000B40C: 20404090
	v_cmp_u_f32_e64 s[78:79], v35, v35                         // 00000000B410: D048004E 00024723
	v_bfe_u32 v228, v35, 16, 1                                 // 00000000B418: D1C800E4 02052123
	v_add3_u32 v228, v35, v228, v231                           // 00000000B420: D1FF00E4 079FC923
	v_cndmask_b32_e64 v33, v228, v230, s[78:79]                // 00000000B428: D1000021 013BCDE4
	v_and_or_b32 v185, v33, v229, v32                          // 00000000B430: D20100B9 0483CB21
	v_mov_b32_e32 v34, v192                                    // 00000000B438: 7E4403C0
	v_mov_b32_e32 v35, v193                                    // 00000000B43C: 7E4603C1
	v_cmp_u_f32_e64 s[78:79], v34, v34                         // 00000000B440: D048004E 00024522
	v_bfe_u32 v228, v34, 16, 1                                 // 00000000B448: D1C800E4 02052122
	v_add3_u32 v228, v34, v228, v231                           // 00000000B450: D1FF00E4 079FC922
	v_cndmask_b32_e64 v32, v228, v230, s[78:79]                // 00000000B458: D1000020 013BCDE4
	v_lshrrev_b32_e32 v32, 16, v32                             // 00000000B460: 20404090
	v_cmp_u_f32_e64 s[78:79], v35, v35                         // 00000000B464: D048004E 00024723
	v_bfe_u32 v228, v35, 16, 1                                 // 00000000B46C: D1C800E4 02052123
	v_add3_u32 v228, v35, v228, v231                           // 00000000B474: D1FF00E4 079FC923
	v_cndmask_b32_e64 v33, v228, v230, s[78:79]                // 00000000B47C: D1000021 013BCDE4
	v_and_or_b32 v186, v33, v229, v32                          // 00000000B484: D20100BA 0483CB21
	v_mov_b32_e32 v34, v194                                    // 00000000B48C: 7E4403C2
	v_mov_b32_e32 v35, v195                                    // 00000000B490: 7E4603C3
	v_cmp_u_f32_e64 s[78:79], v34, v34                         // 00000000B494: D048004E 00024522
	v_bfe_u32 v228, v34, 16, 1                                 // 00000000B49C: D1C800E4 02052122
	v_add3_u32 v228, v34, v228, v231                           // 00000000B4A4: D1FF00E4 079FC922
	v_cndmask_b32_e64 v32, v228, v230, s[78:79]                // 00000000B4AC: D1000020 013BCDE4
	v_lshrrev_b32_e32 v32, 16, v32                             // 00000000B4B4: 20404090
	v_cmp_u_f32_e64 s[78:79], v35, v35                         // 00000000B4B8: D048004E 00024723
	v_bfe_u32 v228, v35, 16, 1                                 // 00000000B4C0: D1C800E4 02052123
	v_add3_u32 v228, v35, v228, v231                           // 00000000B4C8: D1FF00E4 079FC923
	v_cndmask_b32_e64 v33, v228, v230, s[78:79]                // 00000000B4D0: D1000021 013BCDE4
	v_and_or_b32 v187, v33, v229, v32                          // 00000000B4D8: D20100BB 0483CB21
	ds_write_b64 v27, v[180:181]                               // 00000000B4E0: D89A0000 0000B41B
	ds_write_b64 v27, v[182:183] offset:544                    // 00000000B4E8: D89A0220 0000B61B
	ds_write_b64 v27, v[184:185] offset:1088                   // 00000000B4F0: D89A0440 0000B81B
	ds_write_b64 v27, v[186:187] offset:1632                   // 00000000B4F8: D89A0660 0000BA1B
	s_waitcnt lgkmcnt(0)                                       // 00000000B500: BF8CC07F
	s_barrier                                                  // 00000000B504: BF8A0000
	ds_read_b64 v[180:181], v26                                // 00000000B508: D8EC0000 B400001A
	ds_read_b64 v[182:183], v26 offset:128                     // 00000000B510: D8EC0080 B600001A
	ds_read_b64 v[184:185], v26 offset:64                      // 00000000B518: D8EC0040 B800001A
	ds_read_b64 v[186:187], v26 offset:192                     // 00000000B520: D8EC00C0 BA00001A
	s_waitcnt lgkmcnt(0)                                       // 00000000B528: BF8CC07F
	s_mov_b32 s70, s53                                         // 00000000B52C: BEC60035
	buffer_store_dwordx4 v[180:183], v10, s[40:43], 0 idxen    // 00000000B530: E07C2000 800AB40A
	s_mul_i32 s60, 2, s70                                      // 00000000B538: 923C4682
	v_add_u32_e32 v10, s60, v10                                // 00000000B53C: 6814143C
	buffer_store_dwordx4 v[184:187], v10, s[40:43], 0 idxen    // 00000000B540: E07C2000 800AB80A
	s_mul_i32 s60, 2, s70                                      // 00000000B548: 923C4682
	v_add_u32_e32 v10, s60, v10                                // 00000000B54C: 6814143C
	s_mul_i32 s60, 12, s70                                     // 00000000B550: 923C468C
	v_add_u32_e32 v10, s60, v10                                // 00000000B554: 6814143C
	s_cmp_ge_i32 1, s72                                        // 00000000B558: BF034881
	s_cbranch_scc1 label_1F8C                                  // 00000000B55C: BF850190
	v_mov_b32_e32 v34, v196                                    // 00000000B560: 7E4403C4
	v_mov_b32_e32 v35, v197                                    // 00000000B564: 7E4603C5
	v_cmp_u_f32_e64 s[78:79], v34, v34                         // 00000000B568: D048004E 00024522
	v_bfe_u32 v228, v34, 16, 1                                 // 00000000B570: D1C800E4 02052122
	v_add3_u32 v228, v34, v228, v231                           // 00000000B578: D1FF00E4 079FC922
	v_cndmask_b32_e64 v32, v228, v230, s[78:79]                // 00000000B580: D1000020 013BCDE4
	v_lshrrev_b32_e32 v32, 16, v32                             // 00000000B588: 20404090
	v_cmp_u_f32_e64 s[78:79], v35, v35                         // 00000000B58C: D048004E 00024723
	v_bfe_u32 v228, v35, 16, 1                                 // 00000000B594: D1C800E4 02052123
	v_add3_u32 v228, v35, v228, v231                           // 00000000B59C: D1FF00E4 079FC923
	v_cndmask_b32_e64 v33, v228, v230, s[78:79]                // 00000000B5A4: D1000021 013BCDE4
	v_and_or_b32 v188, v33, v229, v32                          // 00000000B5AC: D20100BC 0483CB21
	v_mov_b32_e32 v34, v198                                    // 00000000B5B4: 7E4403C6
	v_mov_b32_e32 v35, v199                                    // 00000000B5B8: 7E4603C7
	v_cmp_u_f32_e64 s[78:79], v34, v34                         // 00000000B5BC: D048004E 00024522
	v_bfe_u32 v228, v34, 16, 1                                 // 00000000B5C4: D1C800E4 02052122
	v_add3_u32 v228, v34, v228, v231                           // 00000000B5CC: D1FF00E4 079FC922
	v_cndmask_b32_e64 v32, v228, v230, s[78:79]                // 00000000B5D4: D1000020 013BCDE4
	v_lshrrev_b32_e32 v32, 16, v32                             // 00000000B5DC: 20404090
	v_cmp_u_f32_e64 s[78:79], v35, v35                         // 00000000B5E0: D048004E 00024723
	v_bfe_u32 v228, v35, 16, 1                                 // 00000000B5E8: D1C800E4 02052123
	v_add3_u32 v228, v35, v228, v231                           // 00000000B5F0: D1FF00E4 079FC923
	v_cndmask_b32_e64 v33, v228, v230, s[78:79]                // 00000000B5F8: D1000021 013BCDE4
	v_and_or_b32 v189, v33, v229, v32                          // 00000000B600: D20100BD 0483CB21
	v_mov_b32_e32 v34, v200                                    // 00000000B608: 7E4403C8
	v_mov_b32_e32 v35, v201                                    // 00000000B60C: 7E4603C9
	v_cmp_u_f32_e64 s[78:79], v34, v34                         // 00000000B610: D048004E 00024522
	v_bfe_u32 v228, v34, 16, 1                                 // 00000000B618: D1C800E4 02052122
	v_add3_u32 v228, v34, v228, v231                           // 00000000B620: D1FF00E4 079FC922
	v_cndmask_b32_e64 v32, v228, v230, s[78:79]                // 00000000B628: D1000020 013BCDE4
	v_lshrrev_b32_e32 v32, 16, v32                             // 00000000B630: 20404090
	v_cmp_u_f32_e64 s[78:79], v35, v35                         // 00000000B634: D048004E 00024723
	v_bfe_u32 v228, v35, 16, 1                                 // 00000000B63C: D1C800E4 02052123
	v_add3_u32 v228, v35, v228, v231                           // 00000000B644: D1FF00E4 079FC923
	v_cndmask_b32_e64 v33, v228, v230, s[78:79]                // 00000000B64C: D1000021 013BCDE4
	v_and_or_b32 v190, v33, v229, v32                          // 00000000B654: D20100BE 0483CB21
	v_mov_b32_e32 v34, v202                                    // 00000000B65C: 7E4403CA
	v_mov_b32_e32 v35, v203                                    // 00000000B660: 7E4603CB
	v_cmp_u_f32_e64 s[78:79], v34, v34                         // 00000000B664: D048004E 00024522
	v_bfe_u32 v228, v34, 16, 1                                 // 00000000B66C: D1C800E4 02052122
	v_add3_u32 v228, v34, v228, v231                           // 00000000B674: D1FF00E4 079FC922
	v_cndmask_b32_e64 v32, v228, v230, s[78:79]                // 00000000B67C: D1000020 013BCDE4
	v_lshrrev_b32_e32 v32, 16, v32                             // 00000000B684: 20404090
	v_cmp_u_f32_e64 s[78:79], v35, v35                         // 00000000B688: D048004E 00024723
	v_bfe_u32 v228, v35, 16, 1                                 // 00000000B690: D1C800E4 02052123
	v_add3_u32 v228, v35, v228, v231                           // 00000000B698: D1FF00E4 079FC923
	v_cndmask_b32_e64 v33, v228, v230, s[78:79]                // 00000000B6A0: D1000021 013BCDE4
	v_and_or_b32 v191, v33, v229, v32                          // 00000000B6A8: D20100BF 0483CB21
	v_mov_b32_e32 v34, v204                                    // 00000000B6B0: 7E4403CC
	v_mov_b32_e32 v35, v205                                    // 00000000B6B4: 7E4603CD
	v_cmp_u_f32_e64 s[78:79], v34, v34                         // 00000000B6B8: D048004E 00024522
	v_bfe_u32 v228, v34, 16, 1                                 // 00000000B6C0: D1C800E4 02052122
	v_add3_u32 v228, v34, v228, v231                           // 00000000B6C8: D1FF00E4 079FC922
	v_cndmask_b32_e64 v32, v228, v230, s[78:79]                // 00000000B6D0: D1000020 013BCDE4
	v_lshrrev_b32_e32 v32, 16, v32                             // 00000000B6D8: 20404090
	v_cmp_u_f32_e64 s[78:79], v35, v35                         // 00000000B6DC: D048004E 00024723
	v_bfe_u32 v228, v35, 16, 1                                 // 00000000B6E4: D1C800E4 02052123
	v_add3_u32 v228, v35, v228, v231                           // 00000000B6EC: D1FF00E4 079FC923
	v_cndmask_b32_e64 v33, v228, v230, s[78:79]                // 00000000B6F4: D1000021 013BCDE4
	v_and_or_b32 v192, v33, v229, v32                          // 00000000B6FC: D20100C0 0483CB21
	v_mov_b32_e32 v34, v206                                    // 00000000B704: 7E4403CE
	v_mov_b32_e32 v35, v207                                    // 00000000B708: 7E4603CF
	v_cmp_u_f32_e64 s[78:79], v34, v34                         // 00000000B70C: D048004E 00024522
	v_bfe_u32 v228, v34, 16, 1                                 // 00000000B714: D1C800E4 02052122
	v_add3_u32 v228, v34, v228, v231                           // 00000000B71C: D1FF00E4 079FC922
	v_cndmask_b32_e64 v32, v228, v230, s[78:79]                // 00000000B724: D1000020 013BCDE4
	v_lshrrev_b32_e32 v32, 16, v32                             // 00000000B72C: 20404090
	v_cmp_u_f32_e64 s[78:79], v35, v35                         // 00000000B730: D048004E 00024723
	v_bfe_u32 v228, v35, 16, 1                                 // 00000000B738: D1C800E4 02052123
	v_add3_u32 v228, v35, v228, v231                           // 00000000B740: D1FF00E4 079FC923
	v_cndmask_b32_e64 v33, v228, v230, s[78:79]                // 00000000B748: D1000021 013BCDE4
	v_and_or_b32 v193, v33, v229, v32                          // 00000000B750: D20100C1 0483CB21
	v_mov_b32_e32 v34, v208                                    // 00000000B758: 7E4403D0
	v_mov_b32_e32 v35, v209                                    // 00000000B75C: 7E4603D1
	v_cmp_u_f32_e64 s[78:79], v34, v34                         // 00000000B760: D048004E 00024522
	v_bfe_u32 v228, v34, 16, 1                                 // 00000000B768: D1C800E4 02052122
	v_add3_u32 v228, v34, v228, v231                           // 00000000B770: D1FF00E4 079FC922
	v_cndmask_b32_e64 v32, v228, v230, s[78:79]                // 00000000B778: D1000020 013BCDE4
	v_lshrrev_b32_e32 v32, 16, v32                             // 00000000B780: 20404090
	v_cmp_u_f32_e64 s[78:79], v35, v35                         // 00000000B784: D048004E 00024723
	v_bfe_u32 v228, v35, 16, 1                                 // 00000000B78C: D1C800E4 02052123
	v_add3_u32 v228, v35, v228, v231                           // 00000000B794: D1FF00E4 079FC923
	v_cndmask_b32_e64 v33, v228, v230, s[78:79]                // 00000000B79C: D1000021 013BCDE4
	v_and_or_b32 v194, v33, v229, v32                          // 00000000B7A4: D20100C2 0483CB21
	v_mov_b32_e32 v34, v210                                    // 00000000B7AC: 7E4403D2
	v_mov_b32_e32 v35, v211                                    // 00000000B7B0: 7E4603D3
	v_cmp_u_f32_e64 s[78:79], v34, v34                         // 00000000B7B4: D048004E 00024522
	v_bfe_u32 v228, v34, 16, 1                                 // 00000000B7BC: D1C800E4 02052122
	v_add3_u32 v228, v34, v228, v231                           // 00000000B7C4: D1FF00E4 079FC922
	v_cndmask_b32_e64 v32, v228, v230, s[78:79]                // 00000000B7CC: D1000020 013BCDE4
	v_lshrrev_b32_e32 v32, 16, v32                             // 00000000B7D4: 20404090
	v_cmp_u_f32_e64 s[78:79], v35, v35                         // 00000000B7D8: D048004E 00024723
	v_bfe_u32 v228, v35, 16, 1                                 // 00000000B7E0: D1C800E4 02052123
	v_add3_u32 v228, v35, v228, v231                           // 00000000B7E8: D1FF00E4 079FC923
	v_cndmask_b32_e64 v33, v228, v230, s[78:79]                // 00000000B7F0: D1000021 013BCDE4
	v_and_or_b32 v195, v33, v229, v32                          // 00000000B7F8: D20100C3 0483CB21
	ds_write_b64 v27, v[188:189] offset:8704                   // 00000000B800: D89A2200 0000BC1B
	ds_write_b64 v27, v[190:191] offset:9248                   // 00000000B808: D89A2420 0000BE1B
	ds_write_b64 v27, v[192:193] offset:9792                   // 00000000B810: D89A2640 0000C01B
	ds_write_b64 v27, v[194:195] offset:10336                  // 00000000B818: D89A2860 0000C21B
	s_waitcnt lgkmcnt(0)                                       // 00000000B820: BF8CC07F
	s_barrier                                                  // 00000000B824: BF8A0000
	ds_read_b64 v[188:189], v26 offset:8704                    // 00000000B828: D8EC2200 BC00001A
	ds_read_b64 v[190:191], v26 offset:8832                    // 00000000B830: D8EC2280 BE00001A
	ds_read_b64 v[192:193], v26 offset:8768                    // 00000000B838: D8EC2240 C000001A
	ds_read_b64 v[194:195], v26 offset:8896                    // 00000000B840: D8EC22C0 C200001A
	s_waitcnt lgkmcnt(0)                                       // 00000000B848: BF8CC07F
	s_mov_b32 s70, s53                                         // 00000000B84C: BEC60035
	buffer_store_dwordx4 v[188:191], v10, s[40:43], 0 idxen    // 00000000B850: E07C2000 800ABC0A
	s_mul_i32 s60, 2, s70                                      // 00000000B858: 923C4682
	v_add_u32_e32 v10, s60, v10                                // 00000000B85C: 6814143C
	buffer_store_dwordx4 v[192:195], v10, s[40:43], 0 idxen    // 00000000B860: E07C2000 800AC00A
	s_mul_i32 s60, 2, s70                                      // 00000000B868: 923C4682
	v_add_u32_e32 v10, s60, v10                                // 00000000B86C: 6814143C
	s_mul_i32 s60, 12, s70                                     // 00000000B870: 923C468C
	v_add_u32_e32 v10, s60, v10                                // 00000000B874: 6814143C
	s_cmp_ge_i32 2, s72                                        // 00000000B878: BF034882
	s_cbranch_scc1 label_1F8C                                  // 00000000B87C: BF8500C8
	v_mov_b32_e32 v34, v212                                    // 00000000B880: 7E4403D4
	v_mov_b32_e32 v35, v213                                    // 00000000B884: 7E4603D5
	v_cmp_u_f32_e64 s[78:79], v34, v34                         // 00000000B888: D048004E 00024522
	v_bfe_u32 v228, v34, 16, 1                                 // 00000000B890: D1C800E4 02052122
	v_add3_u32 v228, v34, v228, v231                           // 00000000B898: D1FF00E4 079FC922
	v_cndmask_b32_e64 v32, v228, v230, s[78:79]                // 00000000B8A0: D1000020 013BCDE4
	v_lshrrev_b32_e32 v32, 16, v32                             // 00000000B8A8: 20404090
	v_cmp_u_f32_e64 s[78:79], v35, v35                         // 00000000B8AC: D048004E 00024723
	v_bfe_u32 v228, v35, 16, 1                                 // 00000000B8B4: D1C800E4 02052123
	v_add3_u32 v228, v35, v228, v231                           // 00000000B8BC: D1FF00E4 079FC923
	v_cndmask_b32_e64 v33, v228, v230, s[78:79]                // 00000000B8C4: D1000021 013BCDE4
	v_and_or_b32 v196, v33, v229, v32                          // 00000000B8CC: D20100C4 0483CB21
	v_mov_b32_e32 v34, v214                                    // 00000000B8D4: 7E4403D6
	v_mov_b32_e32 v35, v215                                    // 00000000B8D8: 7E4603D7
	v_cmp_u_f32_e64 s[78:79], v34, v34                         // 00000000B8DC: D048004E 00024522
	v_bfe_u32 v228, v34, 16, 1                                 // 00000000B8E4: D1C800E4 02052122
	v_add3_u32 v228, v34, v228, v231                           // 00000000B8EC: D1FF00E4 079FC922
	v_cndmask_b32_e64 v32, v228, v230, s[78:79]                // 00000000B8F4: D1000020 013BCDE4
	v_lshrrev_b32_e32 v32, 16, v32                             // 00000000B8FC: 20404090
	v_cmp_u_f32_e64 s[78:79], v35, v35                         // 00000000B900: D048004E 00024723
	v_bfe_u32 v228, v35, 16, 1                                 // 00000000B908: D1C800E4 02052123
	v_add3_u32 v228, v35, v228, v231                           // 00000000B910: D1FF00E4 079FC923
	v_cndmask_b32_e64 v33, v228, v230, s[78:79]                // 00000000B918: D1000021 013BCDE4
	v_and_or_b32 v197, v33, v229, v32                          // 00000000B920: D20100C5 0483CB21
	v_mov_b32_e32 v34, v216                                    // 00000000B928: 7E4403D8
	v_mov_b32_e32 v35, v217                                    // 00000000B92C: 7E4603D9
	v_cmp_u_f32_e64 s[78:79], v34, v34                         // 00000000B930: D048004E 00024522
	v_bfe_u32 v228, v34, 16, 1                                 // 00000000B938: D1C800E4 02052122
	v_add3_u32 v228, v34, v228, v231                           // 00000000B940: D1FF00E4 079FC922
	v_cndmask_b32_e64 v32, v228, v230, s[78:79]                // 00000000B948: D1000020 013BCDE4
	v_lshrrev_b32_e32 v32, 16, v32                             // 00000000B950: 20404090
	v_cmp_u_f32_e64 s[78:79], v35, v35                         // 00000000B954: D048004E 00024723
	v_bfe_u32 v228, v35, 16, 1                                 // 00000000B95C: D1C800E4 02052123
	v_add3_u32 v228, v35, v228, v231                           // 00000000B964: D1FF00E4 079FC923
	v_cndmask_b32_e64 v33, v228, v230, s[78:79]                // 00000000B96C: D1000021 013BCDE4
	v_and_or_b32 v198, v33, v229, v32                          // 00000000B974: D20100C6 0483CB21
	v_mov_b32_e32 v34, v218                                    // 00000000B97C: 7E4403DA
	v_mov_b32_e32 v35, v219                                    // 00000000B980: 7E4603DB
	v_cmp_u_f32_e64 s[78:79], v34, v34                         // 00000000B984: D048004E 00024522
	v_bfe_u32 v228, v34, 16, 1                                 // 00000000B98C: D1C800E4 02052122
	v_add3_u32 v228, v34, v228, v231                           // 00000000B994: D1FF00E4 079FC922
	v_cndmask_b32_e64 v32, v228, v230, s[78:79]                // 00000000B99C: D1000020 013BCDE4
	v_lshrrev_b32_e32 v32, 16, v32                             // 00000000B9A4: 20404090
	v_cmp_u_f32_e64 s[78:79], v35, v35                         // 00000000B9A8: D048004E 00024723
	v_bfe_u32 v228, v35, 16, 1                                 // 00000000B9B0: D1C800E4 02052123
	v_add3_u32 v228, v35, v228, v231                           // 00000000B9B8: D1FF00E4 079FC923
	v_cndmask_b32_e64 v33, v228, v230, s[78:79]                // 00000000B9C0: D1000021 013BCDE4
	v_and_or_b32 v199, v33, v229, v32                          // 00000000B9C8: D20100C7 0483CB21
	v_mov_b32_e32 v34, v220                                    // 00000000B9D0: 7E4403DC
	v_mov_b32_e32 v35, v221                                    // 00000000B9D4: 7E4603DD
	v_cmp_u_f32_e64 s[78:79], v34, v34                         // 00000000B9D8: D048004E 00024522
	v_bfe_u32 v228, v34, 16, 1                                 // 00000000B9E0: D1C800E4 02052122
	v_add3_u32 v228, v34, v228, v231                           // 00000000B9E8: D1FF00E4 079FC922
	v_cndmask_b32_e64 v32, v228, v230, s[78:79]                // 00000000B9F0: D1000020 013BCDE4
	v_lshrrev_b32_e32 v32, 16, v32                             // 00000000B9F8: 20404090
	v_cmp_u_f32_e64 s[78:79], v35, v35                         // 00000000B9FC: D048004E 00024723
	v_bfe_u32 v228, v35, 16, 1                                 // 00000000BA04: D1C800E4 02052123
	v_add3_u32 v228, v35, v228, v231                           // 00000000BA0C: D1FF00E4 079FC923
	v_cndmask_b32_e64 v33, v228, v230, s[78:79]                // 00000000BA14: D1000021 013BCDE4
	v_and_or_b32 v200, v33, v229, v32                          // 00000000BA1C: D20100C8 0483CB21
	v_mov_b32_e32 v34, v222                                    // 00000000BA24: 7E4403DE
	v_mov_b32_e32 v35, v223                                    // 00000000BA28: 7E4603DF
	v_cmp_u_f32_e64 s[78:79], v34, v34                         // 00000000BA2C: D048004E 00024522
	v_bfe_u32 v228, v34, 16, 1                                 // 00000000BA34: D1C800E4 02052122
	v_add3_u32 v228, v34, v228, v231                           // 00000000BA3C: D1FF00E4 079FC922
	v_cndmask_b32_e64 v32, v228, v230, s[78:79]                // 00000000BA44: D1000020 013BCDE4
	v_lshrrev_b32_e32 v32, 16, v32                             // 00000000BA4C: 20404090
	v_cmp_u_f32_e64 s[78:79], v35, v35                         // 00000000BA50: D048004E 00024723
	v_bfe_u32 v228, v35, 16, 1                                 // 00000000BA58: D1C800E4 02052123
	v_add3_u32 v228, v35, v228, v231                           // 00000000BA60: D1FF00E4 079FC923
	v_cndmask_b32_e64 v33, v228, v230, s[78:79]                // 00000000BA68: D1000021 013BCDE4
	v_and_or_b32 v201, v33, v229, v32                          // 00000000BA70: D20100C9 0483CB21
	v_mov_b32_e32 v34, v224                                    // 00000000BA78: 7E4403E0
	v_mov_b32_e32 v35, v225                                    // 00000000BA7C: 7E4603E1
	v_cmp_u_f32_e64 s[78:79], v34, v34                         // 00000000BA80: D048004E 00024522
	v_bfe_u32 v228, v34, 16, 1                                 // 00000000BA88: D1C800E4 02052122
	v_add3_u32 v228, v34, v228, v231                           // 00000000BA90: D1FF00E4 079FC922
	v_cndmask_b32_e64 v32, v228, v230, s[78:79]                // 00000000BA98: D1000020 013BCDE4
	v_lshrrev_b32_e32 v32, 16, v32                             // 00000000BAA0: 20404090
	v_cmp_u_f32_e64 s[78:79], v35, v35                         // 00000000BAA4: D048004E 00024723
	v_bfe_u32 v228, v35, 16, 1                                 // 00000000BAAC: D1C800E4 02052123
	v_add3_u32 v228, v35, v228, v231                           // 00000000BAB4: D1FF00E4 079FC923
	v_cndmask_b32_e64 v33, v228, v230, s[78:79]                // 00000000BABC: D1000021 013BCDE4
	v_and_or_b32 v202, v33, v229, v32                          // 00000000BAC4: D20100CA 0483CB21
	v_mov_b32_e32 v34, v226                                    // 00000000BACC: 7E4403E2
	v_mov_b32_e32 v35, v227                                    // 00000000BAD0: 7E4603E3
	v_cmp_u_f32_e64 s[78:79], v34, v34                         // 00000000BAD4: D048004E 00024522
	v_bfe_u32 v228, v34, 16, 1                                 // 00000000BADC: D1C800E4 02052122
	v_add3_u32 v228, v34, v228, v231                           // 00000000BAE4: D1FF00E4 079FC922
	v_cndmask_b32_e64 v32, v228, v230, s[78:79]                // 00000000BAEC: D1000020 013BCDE4
	v_lshrrev_b32_e32 v32, 16, v32                             // 00000000BAF4: 20404090
	v_cmp_u_f32_e64 s[78:79], v35, v35                         // 00000000BAF8: D048004E 00024723
	v_bfe_u32 v228, v35, 16, 1                                 // 00000000BB00: D1C800E4 02052123
	v_add3_u32 v228, v35, v228, v231                           // 00000000BB08: D1FF00E4 079FC923
	v_cndmask_b32_e64 v33, v228, v230, s[78:79]                // 00000000BB10: D1000021 013BCDE4
	v_and_or_b32 v203, v33, v229, v32                          // 00000000BB18: D20100CB 0483CB21
	ds_write_b64 v27, v[196:197] offset:17408                  // 00000000BB20: D89A4400 0000C41B
	ds_write_b64 v27, v[198:199] offset:17952                  // 00000000BB28: D89A4620 0000C61B
	ds_write_b64 v27, v[200:201] offset:18496                  // 00000000BB30: D89A4840 0000C81B
	ds_write_b64 v27, v[202:203] offset:19040                  // 00000000BB38: D89A4A60 0000CA1B
	s_waitcnt lgkmcnt(0)                                       // 00000000BB40: BF8CC07F
	s_barrier                                                  // 00000000BB44: BF8A0000
	ds_read_b64 v[196:197], v26 offset:17408                   // 00000000BB48: D8EC4400 C400001A
	ds_read_b64 v[198:199], v26 offset:17536                   // 00000000BB50: D8EC4480 C600001A
	ds_read_b64 v[200:201], v26 offset:17472                   // 00000000BB58: D8EC4440 C800001A
	ds_read_b64 v[202:203], v26 offset:17600                   // 00000000BB60: D8EC44C0 CA00001A
	s_waitcnt lgkmcnt(0)                                       // 00000000BB68: BF8CC07F
	s_mov_b32 s70, s53                                         // 00000000BB6C: BEC60035
	buffer_store_dwordx4 v[196:199], v10, s[40:43], 0 idxen    // 00000000BB70: E07C2000 800AC40A
	s_mul_i32 s60, 2, s70                                      // 00000000BB78: 923C4682
	v_add_u32_e32 v10, s60, v10                                // 00000000BB7C: 6814143C
	buffer_store_dwordx4 v[200:203], v10, s[40:43], 0 idxen    // 00000000BB80: E07C2000 800AC80A
	s_mul_i32 s60, 2, s70                                      // 00000000BB88: 923C4682
	v_add_u32_e32 v10, s60, v10                                // 00000000BB8C: 6814143C
	s_mul_i32 s60, 12, s70                                     // 00000000BB90: 923C468C
	v_add_u32_e32 v10, s60, v10                                // 00000000BB94: 6814143C
	s_cmp_ge_i32 3, s72                                        // 00000000BB98: BF034883
	s_cbranch_scc1 label_1F8C                                  // 00000000BB9C: BF850000

000000000000bba0 <label_1F8C>:
	s_waitcnt vmcnt(0) expcnt(0) lgkmcnt(0)                    // 00000000BBA0: BF8C0000
	s_sub_i32 s60, s77, 1                                      // 00000000BBA4: 81BC814D
	s_sub_i32 s2, s60, s2                                      // 00000000BBA8: 8182023C
	s_addk_i32 s75, 0x1                                        // 00000000BBAC: B74B0001
	s_cmp_lt_i32 s75, s76                                      // 00000000BBB0: BF044C4B
	s_cbranch_scc1 label_0161                                  // 00000000BBB4: BF85E1F3

000000000000bbb8 <label_1F92>:
	s_waitcnt vmcnt(0) expcnt(0) lgkmcnt(0)                    // 00000000BBB8: BF8C0000
	s_endpgm                                                   // 00000000BBBC: BF810000
